;; amdgpu-corpus repo=ROCm/rocFFT kind=compiled arch=gfx1201 opt=O3
	.text
	.amdgcn_target "amdgcn-amd-amdhsa--gfx1201"
	.amdhsa_code_object_version 6
	.protected	fft_rtc_fwd_len884_factors_13_4_17_wgs_204_tpt_68_halfLds_half_op_CI_CI_unitstride_sbrr_R2C_dirReg ; -- Begin function fft_rtc_fwd_len884_factors_13_4_17_wgs_204_tpt_68_halfLds_half_op_CI_CI_unitstride_sbrr_R2C_dirReg
	.globl	fft_rtc_fwd_len884_factors_13_4_17_wgs_204_tpt_68_halfLds_half_op_CI_CI_unitstride_sbrr_R2C_dirReg
	.p2align	8
	.type	fft_rtc_fwd_len884_factors_13_4_17_wgs_204_tpt_68_halfLds_half_op_CI_CI_unitstride_sbrr_R2C_dirReg,@function
fft_rtc_fwd_len884_factors_13_4_17_wgs_204_tpt_68_halfLds_half_op_CI_CI_unitstride_sbrr_R2C_dirReg: ; @fft_rtc_fwd_len884_factors_13_4_17_wgs_204_tpt_68_halfLds_half_op_CI_CI_unitstride_sbrr_R2C_dirReg
; %bb.0:
	s_load_b128 s[8:11], s[0:1], 0x0
	v_mul_u32_u24_e32 v1, 0x3c4, v0
	s_clause 0x1
	s_load_b128 s[4:7], s[0:1], 0x58
	s_load_b128 s[12:15], s[0:1], 0x18
	v_mov_b32_e32 v7, 0
	v_mov_b32_e32 v11, 0
	;; [unrolled: 1-line block ×3, first 2 shown]
	v_lshrrev_b32_e32 v1, 16, v1
	s_delay_alu instid0(VALU_DEP_1) | instskip(NEXT) | instid1(VALU_DEP_4)
	v_mad_co_u64_u32 v[3:4], null, ttmp9, 3, v[1:2]
	v_dual_mov_b32 v4, v7 :: v_dual_mov_b32 v1, v11
	s_delay_alu instid0(VALU_DEP_4) | instskip(NEXT) | instid1(VALU_DEP_2)
	v_mov_b32_e32 v2, v12
	v_dual_mov_b32 v6, v4 :: v_dual_mov_b32 v5, v3
	s_wait_kmcnt 0x0
	v_cmp_lt_u64_e64 s2, s[10:11], 2
	s_delay_alu instid0(VALU_DEP_1)
	s_and_b32 vcc_lo, exec_lo, s2
	s_cbranch_vccnz .LBB0_8
; %bb.1:
	s_load_b64 s[2:3], s[0:1], 0x10
	v_dual_mov_b32 v11, 0 :: v_dual_mov_b32 v10, v4
	v_dual_mov_b32 v12, 0 :: v_dual_mov_b32 v9, v3
	s_delay_alu instid0(VALU_DEP_2) | instskip(SKIP_2) | instid1(VALU_DEP_2)
	v_mov_b32_e32 v1, v11
	s_add_nc_u64 s[16:17], s[14:15], 8
	s_add_nc_u64 s[18:19], s[12:13], 8
	v_mov_b32_e32 v2, v12
	s_mov_b64 s[20:21], 1
	s_wait_kmcnt 0x0
	s_add_nc_u64 s[22:23], s[2:3], 8
	s_mov_b32 s3, 0
.LBB0_2:                                ; =>This Inner Loop Header: Depth=1
	s_load_b64 s[24:25], s[22:23], 0x0
                                        ; implicit-def: $vgpr5_vgpr6
	s_mov_b32 s2, exec_lo
	s_wait_kmcnt 0x0
	v_or_b32_e32 v8, s25, v10
	s_delay_alu instid0(VALU_DEP_1)
	v_cmpx_ne_u64_e32 0, v[7:8]
	s_wait_alu 0xfffe
	s_xor_b32 s26, exec_lo, s2
	s_cbranch_execz .LBB0_4
; %bb.3:                                ;   in Loop: Header=BB0_2 Depth=1
	s_cvt_f32_u32 s2, s24
	s_cvt_f32_u32 s27, s25
	s_sub_nc_u64 s[30:31], 0, s[24:25]
	s_wait_alu 0xfffe
	s_delay_alu instid0(SALU_CYCLE_1) | instskip(SKIP_1) | instid1(SALU_CYCLE_2)
	s_fmamk_f32 s2, s27, 0x4f800000, s2
	s_wait_alu 0xfffe
	v_s_rcp_f32 s2, s2
	s_delay_alu instid0(TRANS32_DEP_1) | instskip(SKIP_1) | instid1(SALU_CYCLE_2)
	s_mul_f32 s2, s2, 0x5f7ffffc
	s_wait_alu 0xfffe
	s_mul_f32 s27, s2, 0x2f800000
	s_wait_alu 0xfffe
	s_delay_alu instid0(SALU_CYCLE_2) | instskip(SKIP_1) | instid1(SALU_CYCLE_2)
	s_trunc_f32 s27, s27
	s_wait_alu 0xfffe
	s_fmamk_f32 s2, s27, 0xcf800000, s2
	s_cvt_u32_f32 s29, s27
	s_wait_alu 0xfffe
	s_delay_alu instid0(SALU_CYCLE_1) | instskip(SKIP_1) | instid1(SALU_CYCLE_2)
	s_cvt_u32_f32 s28, s2
	s_wait_alu 0xfffe
	s_mul_u64 s[34:35], s[30:31], s[28:29]
	s_wait_alu 0xfffe
	s_mul_hi_u32 s37, s28, s35
	s_mul_i32 s36, s28, s35
	s_mul_hi_u32 s2, s28, s34
	s_mul_i32 s33, s29, s34
	s_wait_alu 0xfffe
	s_add_nc_u64 s[36:37], s[2:3], s[36:37]
	s_mul_hi_u32 s27, s29, s34
	s_mul_hi_u32 s38, s29, s35
	s_add_co_u32 s2, s36, s33
	s_wait_alu 0xfffe
	s_add_co_ci_u32 s2, s37, s27
	s_mul_i32 s34, s29, s35
	s_add_co_ci_u32 s35, s38, 0
	s_wait_alu 0xfffe
	s_add_nc_u64 s[34:35], s[2:3], s[34:35]
	s_wait_alu 0xfffe
	v_add_co_u32 v4, s2, s28, s34
	s_delay_alu instid0(VALU_DEP_1) | instskip(SKIP_1) | instid1(VALU_DEP_1)
	s_cmp_lg_u32 s2, 0
	s_add_co_ci_u32 s29, s29, s35
	v_readfirstlane_b32 s28, v4
	s_wait_alu 0xfffe
	s_delay_alu instid0(VALU_DEP_1)
	s_mul_u64 s[30:31], s[30:31], s[28:29]
	s_wait_alu 0xfffe
	s_mul_hi_u32 s35, s28, s31
	s_mul_i32 s34, s28, s31
	s_mul_hi_u32 s2, s28, s30
	s_mul_i32 s33, s29, s30
	s_wait_alu 0xfffe
	s_add_nc_u64 s[34:35], s[2:3], s[34:35]
	s_mul_hi_u32 s27, s29, s30
	s_mul_hi_u32 s28, s29, s31
	s_wait_alu 0xfffe
	s_add_co_u32 s2, s34, s33
	s_add_co_ci_u32 s2, s35, s27
	s_mul_i32 s30, s29, s31
	s_add_co_ci_u32 s31, s28, 0
	s_wait_alu 0xfffe
	s_add_nc_u64 s[30:31], s[2:3], s[30:31]
	s_wait_alu 0xfffe
	v_add_co_u32 v6, s2, v4, s30
	s_delay_alu instid0(VALU_DEP_1) | instskip(SKIP_1) | instid1(VALU_DEP_1)
	s_cmp_lg_u32 s2, 0
	s_add_co_ci_u32 s2, s29, s31
	v_mul_hi_u32 v8, v9, v6
	s_wait_alu 0xfffe
	v_mad_co_u64_u32 v[4:5], null, v9, s2, 0
	v_mad_co_u64_u32 v[13:14], null, v10, v6, 0
	;; [unrolled: 1-line block ×3, first 2 shown]
	s_delay_alu instid0(VALU_DEP_3) | instskip(SKIP_1) | instid1(VALU_DEP_4)
	v_add_co_u32 v4, vcc_lo, v8, v4
	s_wait_alu 0xfffd
	v_add_co_ci_u32_e32 v5, vcc_lo, 0, v5, vcc_lo
	s_delay_alu instid0(VALU_DEP_2) | instskip(SKIP_1) | instid1(VALU_DEP_2)
	v_add_co_u32 v4, vcc_lo, v4, v13
	s_wait_alu 0xfffd
	v_add_co_ci_u32_e32 v4, vcc_lo, v5, v14, vcc_lo
	s_wait_alu 0xfffd
	v_add_co_ci_u32_e32 v5, vcc_lo, 0, v16, vcc_lo
	s_delay_alu instid0(VALU_DEP_2) | instskip(SKIP_1) | instid1(VALU_DEP_2)
	v_add_co_u32 v8, vcc_lo, v4, v15
	s_wait_alu 0xfffd
	v_add_co_ci_u32_e32 v6, vcc_lo, 0, v5, vcc_lo
	s_delay_alu instid0(VALU_DEP_2) | instskip(SKIP_1) | instid1(VALU_DEP_3)
	v_mul_lo_u32 v13, s25, v8
	v_mad_co_u64_u32 v[4:5], null, s24, v8, 0
	v_mul_lo_u32 v14, s24, v6
	s_delay_alu instid0(VALU_DEP_2) | instskip(NEXT) | instid1(VALU_DEP_2)
	v_sub_co_u32 v4, vcc_lo, v9, v4
	v_add3_u32 v5, v5, v14, v13
	s_delay_alu instid0(VALU_DEP_1) | instskip(SKIP_1) | instid1(VALU_DEP_1)
	v_sub_nc_u32_e32 v13, v10, v5
	s_wait_alu 0xfffd
	v_subrev_co_ci_u32_e64 v13, s2, s25, v13, vcc_lo
	v_add_co_u32 v14, s2, v8, 2
	s_wait_alu 0xf1ff
	v_add_co_ci_u32_e64 v15, s2, 0, v6, s2
	v_sub_co_u32 v16, s2, v4, s24
	v_sub_co_ci_u32_e32 v5, vcc_lo, v10, v5, vcc_lo
	s_wait_alu 0xf1ff
	v_subrev_co_ci_u32_e64 v13, s2, 0, v13, s2
	s_delay_alu instid0(VALU_DEP_3) | instskip(NEXT) | instid1(VALU_DEP_3)
	v_cmp_le_u32_e32 vcc_lo, s24, v16
	v_cmp_eq_u32_e64 s2, s25, v5
	s_wait_alu 0xfffd
	v_cndmask_b32_e64 v16, 0, -1, vcc_lo
	v_cmp_le_u32_e32 vcc_lo, s25, v13
	s_wait_alu 0xfffd
	v_cndmask_b32_e64 v17, 0, -1, vcc_lo
	v_cmp_le_u32_e32 vcc_lo, s24, v4
	;; [unrolled: 3-line block ×3, first 2 shown]
	s_wait_alu 0xfffd
	v_cndmask_b32_e64 v18, 0, -1, vcc_lo
	v_cmp_eq_u32_e32 vcc_lo, s25, v13
	s_wait_alu 0xf1ff
	s_delay_alu instid0(VALU_DEP_2)
	v_cndmask_b32_e64 v4, v18, v4, s2
	s_wait_alu 0xfffd
	v_cndmask_b32_e32 v13, v17, v16, vcc_lo
	v_add_co_u32 v16, vcc_lo, v8, 1
	s_wait_alu 0xfffd
	v_add_co_ci_u32_e32 v17, vcc_lo, 0, v6, vcc_lo
	s_delay_alu instid0(VALU_DEP_3) | instskip(SKIP_1) | instid1(VALU_DEP_2)
	v_cmp_ne_u32_e32 vcc_lo, 0, v13
	s_wait_alu 0xfffd
	v_cndmask_b32_e32 v5, v17, v15, vcc_lo
	v_cndmask_b32_e32 v13, v16, v14, vcc_lo
	v_cmp_ne_u32_e32 vcc_lo, 0, v4
	s_wait_alu 0xfffd
	s_delay_alu instid0(VALU_DEP_3) | instskip(NEXT) | instid1(VALU_DEP_3)
	v_cndmask_b32_e32 v6, v6, v5, vcc_lo
	v_cndmask_b32_e32 v5, v8, v13, vcc_lo
.LBB0_4:                                ;   in Loop: Header=BB0_2 Depth=1
	s_wait_alu 0xfffe
	s_and_not1_saveexec_b32 s2, s26
	s_cbranch_execz .LBB0_6
; %bb.5:                                ;   in Loop: Header=BB0_2 Depth=1
	v_cvt_f32_u32_e32 v4, s24
	s_sub_co_i32 s26, 0, s24
	s_delay_alu instid0(VALU_DEP_1) | instskip(NEXT) | instid1(TRANS32_DEP_1)
	v_rcp_iflag_f32_e32 v4, v4
	v_mul_f32_e32 v4, 0x4f7ffffe, v4
	s_delay_alu instid0(VALU_DEP_1) | instskip(SKIP_1) | instid1(VALU_DEP_1)
	v_cvt_u32_f32_e32 v4, v4
	s_wait_alu 0xfffe
	v_mul_lo_u32 v5, s26, v4
	s_delay_alu instid0(VALU_DEP_1) | instskip(NEXT) | instid1(VALU_DEP_1)
	v_mul_hi_u32 v5, v4, v5
	v_add_nc_u32_e32 v4, v4, v5
	s_delay_alu instid0(VALU_DEP_1) | instskip(NEXT) | instid1(VALU_DEP_1)
	v_mul_hi_u32 v4, v9, v4
	v_mul_lo_u32 v5, v4, s24
	v_add_nc_u32_e32 v6, 1, v4
	s_delay_alu instid0(VALU_DEP_2) | instskip(NEXT) | instid1(VALU_DEP_1)
	v_sub_nc_u32_e32 v5, v9, v5
	v_subrev_nc_u32_e32 v8, s24, v5
	v_cmp_le_u32_e32 vcc_lo, s24, v5
	s_wait_alu 0xfffd
	s_delay_alu instid0(VALU_DEP_2) | instskip(NEXT) | instid1(VALU_DEP_1)
	v_dual_cndmask_b32 v5, v5, v8 :: v_dual_cndmask_b32 v4, v4, v6
	v_cmp_le_u32_e32 vcc_lo, s24, v5
	s_delay_alu instid0(VALU_DEP_2) | instskip(SKIP_1) | instid1(VALU_DEP_1)
	v_add_nc_u32_e32 v6, 1, v4
	s_wait_alu 0xfffd
	v_dual_cndmask_b32 v5, v4, v6 :: v_dual_mov_b32 v6, v7
.LBB0_6:                                ;   in Loop: Header=BB0_2 Depth=1
	s_wait_alu 0xfffe
	s_or_b32 exec_lo, exec_lo, s2
	s_delay_alu instid0(VALU_DEP_1) | instskip(NEXT) | instid1(VALU_DEP_2)
	v_mul_lo_u32 v4, v6, s24
	v_mul_lo_u32 v8, v5, s25
	s_load_b64 s[26:27], s[18:19], 0x0
	v_mad_co_u64_u32 v[13:14], null, v5, s24, 0
	s_load_b64 s[24:25], s[16:17], 0x0
	s_add_nc_u64 s[20:21], s[20:21], 1
	s_add_nc_u64 s[16:17], s[16:17], 8
	s_wait_alu 0xfffe
	v_cmp_ge_u64_e64 s2, s[20:21], s[10:11]
	s_add_nc_u64 s[18:19], s[18:19], 8
	s_add_nc_u64 s[22:23], s[22:23], 8
	v_add3_u32 v4, v14, v8, v4
	v_sub_co_u32 v8, vcc_lo, v9, v13
	s_wait_alu 0xfffd
	s_delay_alu instid0(VALU_DEP_2) | instskip(SKIP_2) | instid1(VALU_DEP_1)
	v_sub_co_ci_u32_e32 v4, vcc_lo, v10, v4, vcc_lo
	s_and_b32 vcc_lo, exec_lo, s2
	s_wait_kmcnt 0x0
	v_mul_lo_u32 v9, s26, v4
	v_mul_lo_u32 v10, s27, v8
	v_mad_co_u64_u32 v[11:12], null, s26, v8, v[11:12]
	v_mul_lo_u32 v4, s24, v4
	v_mul_lo_u32 v13, s25, v8
	v_mad_co_u64_u32 v[1:2], null, s24, v8, v[1:2]
	s_delay_alu instid0(VALU_DEP_4) | instskip(NEXT) | instid1(VALU_DEP_2)
	v_add3_u32 v12, v10, v12, v9
	v_add3_u32 v2, v13, v2, v4
	s_wait_alu 0xfffe
	s_cbranch_vccnz .LBB0_8
; %bb.7:                                ;   in Loop: Header=BB0_2 Depth=1
	v_dual_mov_b32 v10, v6 :: v_dual_mov_b32 v9, v5
	s_branch .LBB0_2
.LBB0_8:
	s_load_b64 s[0:1], s[0:1], 0x28
	v_mul_hi_u32 v4, 0xaaaaaaab, v3
	s_lshl_b64 s[10:11], s[10:11], 3
                                        ; implicit-def: $vgpr8
                                        ; implicit-def: $vgpr10
	s_delay_alu instid0(VALU_DEP_1) | instskip(NEXT) | instid1(VALU_DEP_1)
	v_lshrrev_b32_e32 v4, 1, v4
	v_lshl_add_u32 v7, v4, 1, v4
	v_mul_hi_u32 v4, 0x3c3c3c4, v0
	s_delay_alu instid0(VALU_DEP_2) | instskip(SKIP_3) | instid1(VALU_DEP_1)
	v_sub_nc_u32_e32 v9, v3, v7
	s_wait_kmcnt 0x0
	v_cmp_gt_u64_e32 vcc_lo, s[0:1], v[5:6]
	v_cmp_le_u64_e64 s0, s[0:1], v[5:6]
                                        ; implicit-def: $vgpr3
                                        ; implicit-def: $vgpr7
	s_and_saveexec_b32 s1, s0
	s_wait_alu 0xfffe
	s_xor_b32 s0, exec_lo, s1
; %bb.9:
	v_mul_u32_u24_e32 v3, 0x44, v4
                                        ; implicit-def: $vgpr4
                                        ; implicit-def: $vgpr11_vgpr12
	s_delay_alu instid0(VALU_DEP_1) | instskip(NEXT) | instid1(VALU_DEP_1)
	v_sub_nc_u32_e32 v3, v0, v3
                                        ; implicit-def: $vgpr0
	v_add_nc_u32_e32 v8, 0x44, v3
	v_add_nc_u32_e32 v10, 0x88, v3
	;; [unrolled: 1-line block ×3, first 2 shown]
; %bb.10:
	s_wait_alu 0xfffe
	s_or_saveexec_b32 s1, s0
	v_mul_u32_u24_e32 v9, 0x375, v9
	s_add_nc_u64 s[2:3], s[14:15], s[10:11]
	s_delay_alu instid0(VALU_DEP_1)
	v_lshlrev_b32_e32 v24, 2, v9
	s_wait_alu 0xfffe
	s_xor_b32 exec_lo, exec_lo, s1
	s_cbranch_execz .LBB0_12
; %bb.11:
	s_add_nc_u64 s[10:11], s[12:13], s[10:11]
	s_load_b64 s[10:11], s[10:11], 0x0
	s_wait_kmcnt 0x0
	v_mul_lo_u32 v3, s11, v5
	v_mul_lo_u32 v9, s10, v6
	v_mad_co_u64_u32 v[7:8], null, s10, v5, 0
	s_delay_alu instid0(VALU_DEP_1) | instskip(SKIP_2) | instid1(VALU_DEP_3)
	v_add3_u32 v8, v8, v9, v3
	v_mul_u32_u24_e32 v3, 0x44, v4
	v_lshlrev_b64_e32 v[9:10], 2, v[11:12]
	v_lshlrev_b64_e32 v[7:8], 2, v[7:8]
	s_delay_alu instid0(VALU_DEP_3) | instskip(NEXT) | instid1(VALU_DEP_1)
	v_sub_nc_u32_e32 v3, v0, v3
	v_lshlrev_b32_e32 v11, 2, v3
	s_delay_alu instid0(VALU_DEP_3) | instskip(SKIP_1) | instid1(VALU_DEP_4)
	v_add_co_u32 v0, s0, s4, v7
	s_wait_alu 0xf1ff
	v_add_co_ci_u32_e64 v4, s0, s5, v8, s0
	s_delay_alu instid0(VALU_DEP_2) | instskip(SKIP_1) | instid1(VALU_DEP_2)
	v_add_co_u32 v0, s0, v0, v9
	s_wait_alu 0xf1ff
	v_add_co_ci_u32_e64 v4, s0, v4, v10, s0
	v_add_nc_u32_e32 v10, 0x88, v3
	s_delay_alu instid0(VALU_DEP_3) | instskip(SKIP_1) | instid1(VALU_DEP_3)
	v_add_co_u32 v7, s0, v0, v11
	s_wait_alu 0xf1ff
	v_add_co_ci_u32_e64 v8, s0, 0, v4, s0
	s_clause 0xc
	global_load_b32 v0, v[7:8], off
	global_load_b32 v4, v[7:8], off offset:272
	global_load_b32 v9, v[7:8], off offset:544
	;; [unrolled: 1-line block ×12, first 2 shown]
	v_add3_u32 v11, 0, v24, v11
	v_add_nc_u32_e32 v8, 0x44, v3
	v_add_nc_u32_e32 v7, 0xcc, v3
	s_delay_alu instid0(VALU_DEP_3)
	v_add_nc_u32_e32 v22, 0x400, v11
	v_add_nc_u32_e32 v23, 0x800, v11
	s_wait_loadcnt 0xb
	ds_store_2addr_b32 v11, v0, v4 offset1:68
	s_wait_loadcnt 0x9
	ds_store_2addr_b32 v11, v9, v12 offset0:136 offset1:204
	s_wait_loadcnt 0x7
	ds_store_2addr_b32 v22, v13, v14 offset0:16 offset1:84
	;; [unrolled: 2-line block ×5, first 2 shown]
	s_wait_loadcnt 0x0
	ds_store_b32 v11, v21 offset:3264
.LBB0_12:
	s_or_b32 exec_lo, exec_lo, s1
	v_add_nc_u32_e32 v0, 0, v24
	v_lshlrev_b32_e32 v4, 2, v3
	s_load_b64 s[2:3], s[2:3], 0x0
	global_wb scope:SCOPE_SE
	s_wait_dscnt 0x0
	s_wait_kmcnt 0x0
	s_barrier_signal -1
	s_barrier_wait -1
	v_add_nc_u32_e32 v27, v0, v4
	v_add3_u32 v9, 0, v4, v24
	global_inv scope:SCOPE_SE
	v_cmp_gt_u32_e64 s0, 17, v3
	ds_load_b32 v14, v27
	ds_load_2addr_b32 v[18:19], v9 offset0:68 offset1:136
	v_add_nc_u32_e32 v12, 0xa00, v9
	v_add_nc_u32_e32 v11, 0x200, v9
	v_add_nc_u32_e32 v13, 0x400, v9
	ds_load_2addr_b32 v[20:21], v12 offset0:108 offset1:176
	ds_load_2addr_b32 v[22:23], v11 offset0:76 offset1:144
	v_add_nc_u32_e32 v15, 0x600, v9
	v_add_nc_u32_e32 v16, 0x800, v9
	ds_load_2addr_b32 v[25:26], v13 offset0:84 offset1:152
	ds_load_2addr_b32 v[28:29], v15 offset0:92 offset1:160
	ds_load_2addr_b32 v[30:31], v16 offset0:100 offset1:168
	v_mad_u32_u24 v12, v3, 48, v9
	global_wb scope:SCOPE_SE
	s_wait_dscnt 0x0
	s_barrier_signal -1
	s_barrier_wait -1
	global_inv scope:SCOPE_SE
	v_lshrrev_b32_e32 v32, 16, v14
	v_pk_add_f16 v17, v14, v18
	v_pk_add_f16 v34, v20, v19
	s_delay_alu instid0(VALU_DEP_2)
	v_pk_add_f16 v33, v17, v19
	v_pk_add_f16 v17, v18, v21 neg_lo:[0,1] neg_hi:[0,1]
	v_pk_add_f16 v18, v21, v18
	v_pk_add_f16 v19, v19, v20 neg_lo:[0,1] neg_hi:[0,1]
	v_pk_mul_f16 v43, 0x388bb5ac, v34
	v_pk_add_f16 v33, v33, v22
	v_lshrrev_b32_e32 v35, 16, v17
	v_lshrrev_b32_e32 v37, 16, v18
	v_mul_f16_e32 v41, 0xb94e, v17
	v_pk_mul_f16 v36, 0x3b15388b, v18
	v_pk_add_f16 v33, v33, v23
	v_mul_f16_e32 v38, 0xba95, v17
	v_mul_f16_e32 v39, 0xbbf1, v17
	;; [unrolled: 1-line block ×3, first 2 shown]
	v_lshrrev_b32_e32 v42, 16, v19
	v_pk_add_f16 v33, v33, v25
	v_mul_f16_e32 v44, 0xb770, v35
	v_mul_f16_e32 v47, 0xbbf1, v35
	v_mul_f16_e32 v49, 0xbb7b, v35
	v_mul_f16_e32 v35, 0xb94e, v35
	v_pk_add_f16 v33, v33, v26
	v_fmamk_f16 v51, v37, 0xb9fd, v41
	v_pk_fma_f16 v45, 0xba95b770, v17, v36 op_sel:[0,0,1] op_sel_hi:[1,1,0] neg_lo:[0,1,0] neg_hi:[0,1,0]
	v_pk_fma_f16 v36, 0xba95b770, v17, v36 op_sel:[0,0,1] op_sel_hi:[1,1,0]
	v_fmamk_f16 v46, v37, 0x388b, v38
	v_pk_add_f16 v33, v33, v28
	v_fma_f16 v38, v37, 0x388b, -v38
	v_fmamk_f16 v48, v37, 0x2fb7, v39
	v_fma_f16 v39, v37, 0x2fb7, -v39
	v_fmamk_f16 v50, v37, 0xb5ac, v40
	v_pk_add_f16 v33, v33, v29
	v_fma_f16 v40, v37, 0xb5ac, -v40
	v_fma_f16 v37, v37, 0xb9fd, -v41
	;; [unrolled: 1-line block ×4, first 2 shown]
	v_pk_add_f16 v33, v33, v30
	v_fmac_f16_e32 v47, 0x2fb7, v18
	v_fma_f16 v54, v18, 0xb5ac, -v49
	v_fma_f16 v55, v18, 0xb9fd, -v35
	v_fmac_f16_e32 v44, 0x3b15, v18
	v_pk_add_f16 v33, v33, v31
	v_bfi_b32 v52, 0xffff, v36, v45
	v_add_f16_e32 v41, v14, v41
	v_lshrrev_b32_e32 v57, 16, v34
	v_add_f16_e32 v44, v14, v44
	v_pk_add_f16 v20, v33, v20
	v_add_f16_e32 v33, v14, v47
	v_add_f16_e32 v47, v14, v54
	;; [unrolled: 1-line block ×3, first 2 shown]
	v_pk_fma_f16 v55, 0xbb7bba95, v19, v43 op_sel:[0,0,1] op_sel_hi:[1,1,0] neg_lo:[0,1,0] neg_hi:[0,1,0]
	v_pk_add_f16 v20, v20, v21
	v_add_f16_e32 v21, v32, v51
	v_mul_f16_e32 v51, 0xba95, v42
	v_pk_fma_f16 v43, 0xbb7bba95, v19, v43 op_sel:[0,0,1] op_sel_hi:[1,1,0]
	v_pk_add_f16 v52, v14, v52 op_sel:[1,0] op_sel_hi:[0,1]
	v_mul_f16_e32 v58, 0xbb7b, v19
	v_add_f16_e32 v46, v32, v46
	v_fma_f16 v56, v34, 0x388b, -v51
	v_fmac_f16_e32 v51, 0x388b, v34
	v_bfi_b32 v59, 0xffff, v43, v55
	v_pk_add_f16 v36, v14, v36 op_sel:[1,0] op_sel_hi:[0,1]
	v_add_f16_e32 v38, v32, v38
	v_add_f16_e32 v41, v56, v41
	v_mul_f16_e32 v56, 0xb3a8, v42
	v_add_f16_e32 v53, v14, v53
	v_add_f16_e32 v44, v51, v44
	v_fmamk_f16 v51, v57, 0xb5ac, v58
	v_pk_add_f16 v52, v59, v52
	v_fma_f16 v58, v57, 0xb5ac, -v58
	v_fma_f16 v59, v34, 0xbbc4, -v56
	v_mul_f16_e32 v60, 0xb3a8, v19
	v_add_f16_e32 v48, v32, v48
	v_fmac_f16_e32 v49, 0xb5ac, v18
	v_add_f16_e32 v46, v51, v46
	v_pk_add_f16 v36, v43, v36
	v_add_f16_e32 v38, v58, v38
	v_add_f16_e32 v43, v59, v53
	v_fmamk_f16 v51, v57, 0xbbc4, v60
	v_fmac_f16_e32 v56, 0xbbc4, v34
	v_mul_f16_e32 v53, 0x394e, v42
	v_mul_f16_e32 v58, 0x394e, v19
	v_add_f16_e32 v50, v32, v50
	v_add_f16_e32 v49, v14, v49
	;; [unrolled: 1-line block ×4, first 2 shown]
	v_fma_f16 v51, v34, 0xb9fd, -v53
	v_fmamk_f16 v56, v57, 0xb9fd, v58
	v_mul_f16_e32 v42, 0x3bf1, v42
	v_fmac_f16_e32 v53, 0xb9fd, v34
	v_add_f16_e32 v40, v32, v40
	v_add_f16_e32 v47, v51, v47
	;; [unrolled: 1-line block ×3, first 2 shown]
	v_fma_f16 v51, v57, 0xb9fd, -v58
	v_fma_f16 v56, v34, 0x2fb7, -v42
	v_add_f16_e32 v49, v53, v49
	v_mul_f16_e32 v53, 0x3bf1, v19
	v_pk_add_f16 v58, v22, v31 neg_lo:[0,1] neg_hi:[0,1]
	v_fmac_f16_e32 v35, 0xb9fd, v18
	v_add_f16_e32 v40, v51, v40
	v_add_f16_e32 v51, v56, v54
	v_pk_add_f16 v31, v31, v22
	v_fmamk_f16 v22, v57, 0x2fb7, v53
	v_lshrrev_b32_e32 v54, 16, v58
	v_add_f16_e32 v39, v32, v39
	v_add_f16_e32 v35, v14, v35
	;; [unrolled: 1-line block ×3, first 2 shown]
	v_fma_f16 v59, v57, 0xbbc4, -v60
	v_fmac_f16_e32 v42, 0x2fb7, v34
	v_fma_f16 v53, v57, 0x2fb7, -v53
	v_pk_mul_f16 v56, 0x2fb7bbc4, v31
	v_add_f16_e32 v21, v22, v21
	v_mul_f16_e32 v22, 0xbbf1, v54
	v_add_f16_e32 v39, v59, v39
	v_add_f16_e32 v35, v42, v35
	;; [unrolled: 1-line block ×3, first 2 shown]
	v_pk_fma_f16 v42, 0xb3a8bbf1, v58, v56 op_sel:[0,0,1] op_sel_hi:[1,1,0] neg_lo:[0,1,0] neg_hi:[0,1,0]
	v_pk_fma_f16 v53, 0xb3a8bbf1, v58, v56 op_sel:[0,0,1] op_sel_hi:[1,1,0]
	v_fma_f16 v56, v31, 0x2fb7, -v22
	v_fmac_f16_e32 v22, 0x2fb7, v31
	v_lshrrev_b32_e32 v57, 16, v31
	v_mul_f16_e32 v59, 0xb3a8, v58
	v_bfi_b32 v60, 0xffff, v53, v42
	v_add_f16_e32 v41, v56, v41
	v_mul_f16_e32 v56, 0x3b7b, v54
	v_add_f16_e32 v22, v22, v44
	v_fmamk_f16 v44, v57, 0xbbc4, v59
	v_fma_f16 v59, v57, 0xbbc4, -v59
	v_mul_f16_e32 v61, 0x3b7b, v58
	v_pk_add_f16 v52, v60, v52
	v_fma_f16 v60, v31, 0xb5ac, -v56
	v_add_f16_e32 v44, v44, v46
	v_pk_add_f16 v36, v53, v36
	v_add_f16_e32 v38, v59, v38
	v_fmamk_f16 v46, v57, 0xb5ac, v61
	v_fmac_f16_e32 v56, 0xb5ac, v31
	v_mul_f16_e32 v53, 0x3770, v54
	v_mul_f16_e32 v59, 0x3770, v58
	;; [unrolled: 1-line block ×3, first 2 shown]
	v_add_f16_e32 v46, v46, v48
	v_add_f16_e32 v33, v56, v33
	v_fma_f16 v48, v31, 0x3b15, -v53
	v_fmamk_f16 v56, v57, 0x3b15, v59
	v_fmac_f16_e32 v53, 0x3b15, v31
	v_add_f16_e32 v43, v60, v43
	v_fma_f16 v60, v57, 0xb5ac, -v61
	v_add_f16_e32 v47, v48, v47
	v_add_f16_e32 v48, v56, v50
	v_fma_f16 v50, v57, 0x3b15, -v59
	v_fma_f16 v56, v31, 0x388b, -v54
	v_add_f16_e32 v49, v53, v49
	v_mul_f16_e32 v53, 0xba95, v58
	v_pk_add_f16 v59, v23, v30 neg_lo:[0,1] neg_hi:[0,1]
	v_add_f16_e32 v40, v50, v40
	v_add_f16_e32 v50, v56, v51
	v_pk_add_f16 v23, v30, v23
	v_fmamk_f16 v30, v57, 0x388b, v53
	v_lshrrev_b32_e32 v51, 16, v59
	v_fmac_f16_e32 v54, 0x388b, v31
	v_fma_f16 v53, v57, 0x388b, -v53
	v_pk_mul_f16 v56, 0xb5acb9fd, v23
	v_add_f16_e32 v21, v30, v21
	v_mul_f16_e32 v30, 0xbb7b, v51
	v_add_f16_e32 v35, v54, v35
	v_add_f16_e32 v37, v53, v37
	v_pk_fma_f16 v53, 0x394ebb7b, v59, v56 op_sel:[0,0,1] op_sel_hi:[1,1,0] neg_lo:[0,1,0] neg_hi:[0,1,0]
	v_pk_fma_f16 v54, 0x394ebb7b, v59, v56 op_sel:[0,0,1] op_sel_hi:[1,1,0]
	v_fma_f16 v56, v23, 0xb5ac, -v30
	v_add_f16_e32 v39, v60, v39
	v_lshrrev_b32_e32 v57, 16, v23
	v_mul_f16_e32 v60, 0x394e, v59
	v_fmac_f16_e32 v30, 0xb5ac, v23
	v_bfi_b32 v61, 0xffff, v54, v53
	v_add_f16_e32 v41, v56, v41
	v_mul_f16_e32 v56, 0x3770, v51
	v_fmamk_f16 v62, v57, 0xb9fd, v60
	v_add_f16_e32 v22, v30, v22
	v_pk_add_f16 v30, v61, v52
	v_fma_f16 v52, v57, 0xb9fd, -v60
	v_fma_f16 v60, v23, 0x3b15, -v56
	v_pk_add_f16 v36, v54, v36
	v_mul_f16_e32 v54, 0x3770, v59
	v_fmac_f16_e32 v56, 0x3b15, v23
	v_add_f16_e32 v38, v52, v38
	v_add_f16_e32 v43, v60, v43
	v_mul_f16_e32 v52, 0xbbf1, v51
	v_mul_f16_e32 v60, 0xbbf1, v59
	v_fmamk_f16 v61, v57, 0x3b15, v54
	v_fma_f16 v54, v57, 0x3b15, -v54
	v_add_f16_e32 v44, v62, v44
	v_fma_f16 v62, v23, 0x2fb7, -v52
	v_add_f16_e32 v33, v56, v33
	v_fmac_f16_e32 v52, 0x2fb7, v23
	v_add_f16_e32 v39, v54, v39
	v_fma_f16 v54, v57, 0x2fb7, -v60
	v_mul_f16_e32 v51, 0x33a8, v51
	v_pk_add_f16 v56, v25, v29 neg_lo:[0,1] neg_hi:[0,1]
	v_fmamk_f16 v63, v57, 0x2fb7, v60
	v_mul_f16_e32 v60, 0x33a8, v59
	v_add_f16_e32 v49, v52, v49
	v_add_f16_e32 v40, v54, v40
	v_fma_f16 v52, v23, 0xbbc4, -v51
	v_lshrrev_b32_e32 v54, 16, v56
	v_pk_add_f16 v25, v29, v25
	v_add_f16_e32 v46, v61, v46
	v_fmamk_f16 v61, v57, 0xbbc4, v60
	v_fmac_f16_e32 v51, 0xbbc4, v23
	v_add_f16_e32 v29, v52, v50
	v_mul_f16_e32 v50, 0xb94e, v54
	v_pk_mul_f16 v52, 0xb9fd2fb7, v25
	v_add_f16_e32 v47, v62, v47
	v_add_f16_e32 v21, v61, v21
	;; [unrolled: 1-line block ×3, first 2 shown]
	v_fma_f16 v51, v57, 0xbbc4, -v60
	v_fma_f16 v57, v25, 0xb9fd, -v50
	v_fmac_f16_e32 v50, 0xb9fd, v25
	v_pk_fma_f16 v60, 0x3bf1b94e, v56, v52 op_sel:[0,0,1] op_sel_hi:[1,1,0] neg_lo:[0,1,0] neg_hi:[0,1,0]
	v_pk_fma_f16 v52, 0x3bf1b94e, v56, v52 op_sel:[0,0,1] op_sel_hi:[1,1,0]
	v_lshrrev_b32_e32 v61, 16, v25
	v_mul_f16_e32 v62, 0x3bf1, v56
	v_add_f16_e32 v37, v51, v37
	v_add_f16_e32 v41, v57, v41
	;; [unrolled: 1-line block ×3, first 2 shown]
	v_bfi_b32 v50, 0xffff, v52, v60
	v_fmamk_f16 v51, v61, 0x2fb7, v62
	v_fma_f16 v57, v61, 0x2fb7, -v62
	v_mul_f16_e32 v62, 0xba95, v54
	v_add_f16_e32 v48, v63, v48
	v_pk_add_f16 v30, v50, v30
	v_mul_f16_e32 v63, 0xba95, v56
	v_add_f16_e32 v38, v57, v38
	v_fma_f16 v50, v25, 0x388b, -v62
	v_mul_f16_e32 v57, 0x33a8, v54
	v_add_f16_e32 v44, v51, v44
	v_fmamk_f16 v51, v61, 0x388b, v63
	v_fmac_f16_e32 v62, 0x388b, v25
	v_add_f16_e32 v43, v50, v43
	v_fma_f16 v50, v25, 0xbbc4, -v57
	v_fmac_f16_e32 v57, 0xbbc4, v25
	v_mul_f16_e32 v64, 0x33a8, v56
	v_add_f16_e32 v46, v51, v46
	v_add_f16_e32 v33, v62, v33
	v_fma_f16 v62, v61, 0x388b, -v63
	v_add_f16_e32 v49, v57, v49
	v_pk_add_f16 v57, v26, v28 neg_lo:[0,1] neg_hi:[0,1]
	v_fmamk_f16 v51, v61, 0xbbc4, v64
	v_mul_f16_e32 v54, 0x3770, v54
	v_add_f16_e32 v47, v50, v47
	v_fma_f16 v50, v61, 0xbbc4, -v64
	v_mul_f16_e32 v63, 0x3770, v56
	v_add_f16_e32 v32, v32, v45
	v_lshrrev_b32_e32 v45, 16, v57
	v_add_f16_e32 v48, v51, v48
	v_fma_f16 v51, v25, 0x3b15, -v54
	v_add_f16_e32 v40, v50, v40
	v_fmamk_f16 v50, v61, 0x3b15, v63
	v_pk_add_f16 v26, v28, v26
	v_add_f16_e32 v28, v55, v32
	v_mul_f16_e32 v32, 0xb3a8, v45
	v_add_f16_e32 v29, v51, v29
	v_add_f16_e32 v50, v50, v21
	v_fma_f16 v21, v61, 0x3b15, -v63
	v_add_f16_e32 v28, v42, v28
	v_fma_f16 v42, v26, 0xbbc4, -v32
	v_fmac_f16_e32 v32, 0xbbc4, v26
	v_pk_mul_f16 v51, 0xbbc43b15, v26
	v_add_f16_e32 v37, v21, v37
	v_add_f16_e32 v28, v53, v28
	;; [unrolled: 1-line block ×4, first 2 shown]
	v_pk_fma_f16 v22, 0x3770b3a8, v57, v51 op_sel:[0,0,1] op_sel_hi:[1,1,0] neg_lo:[0,1,0] neg_hi:[0,1,0]
	v_pk_fma_f16 v32, 0x3770b3a8, v57, v51 op_sel:[0,0,1] op_sel_hi:[1,1,0]
	v_add_f16_e32 v28, v60, v28
	v_lshrrev_b32_e32 v42, 16, v26
	v_mul_f16_e32 v53, 0x3770, v57
	v_mul_f16_e32 v55, 0xb94e, v45
	v_bfi_b32 v32, 0xffff, v32, v22
	v_add_f16_e32 v22, v22, v28
	v_mul_f16_e32 v60, 0xb9fd, v42
	v_fmamk_f16 v28, v42, 0x3b15, v53
	v_fma_f16 v53, v42, 0x3b15, -v53
	v_pk_add_f16 v30, v32, v30
	v_fma_f16 v32, v26, 0xb9fd, -v55
	v_fmac_f16_e32 v55, 0xb9fd, v26
	v_add_f16_e32 v28, v28, v44
	v_add_f16_e32 v38, v53, v38
	v_mul_f16_e32 v44, 0x3a95, v45
	v_add_f16_e32 v32, v32, v43
	v_fmamk_f16 v43, v57, 0xb94e, v60
	v_mul_f16_e32 v53, 0x3a95, v57
	v_add_f16_e32 v33, v55, v33
	v_fma_f16 v61, v26, 0x388b, -v44
	v_fmac_f16_e32 v44, 0x388b, v26
	v_add_f16_e32 v43, v43, v46
	v_fmamk_f16 v46, v42, 0x388b, v53
	v_mul_f16_e32 v55, 0xbb7b, v57
	v_fmac_f16_e32 v54, 0x3b15, v25
	v_mul_f16_e32 v45, 0xbb7b, v45
	v_add_f16_e32 v44, v44, v49
	v_add_f16_e32 v46, v46, v48
	v_fma_f16 v48, v42, 0x388b, -v53
	v_fmamk_f16 v49, v42, 0xb5ac, v55
	v_pk_mul_f16 v18, 0xbbc4, v18 op_sel_hi:[0,1]
	v_add_f16_e32 v35, v54, v35
	v_fma_f16 v53, v26, 0xb5ac, -v45
	v_add_f16_e32 v40, v48, v40
	v_fmac_f16_e32 v45, 0xb5ac, v26
	v_add_f16_e32 v48, v49, v50
	v_pk_fma_f16 v49, 0xb3a8, v17, v18 op_sel:[0,0,1] op_sel_hi:[0,1,0] neg_lo:[0,1,0] neg_hi:[0,1,0]
	v_pk_fma_f16 v17, 0xb3a8, v17, v18 op_sel:[0,0,1] op_sel_hi:[0,1,0]
	v_pk_mul_f16 v18, 0x3b15, v34 op_sel_hi:[0,1]
	v_add_f16_e32 v34, v45, v35
	v_fma_f16 v35, v42, 0xb5ac, -v55
	v_pk_add_f16 v42, v14, v49 op_sel:[1,0] op_sel_hi:[0,1]
	v_pk_add_f16 v14, v14, v17 op_sel:[1,0] op_sel_hi:[0,1]
	v_pk_fma_f16 v17, 0x3770, v19, v18 op_sel:[0,0,1] op_sel_hi:[0,1,0] neg_lo:[0,1,0] neg_hi:[0,1,0]
	v_pk_fma_f16 v18, 0x3770, v19, v18 op_sel:[0,0,1] op_sel_hi:[0,1,0]
	v_pk_mul_f16 v19, 0xb9fd, v31 op_sel_hi:[0,1]
	v_pk_mul_f16 v23, 0x388b, v23 op_sel_hi:[0,1]
	v_mul_f16_e32 v63, 0xb94e, v57
	v_pk_add_f16 v17, v17, v42
	v_pk_add_f16 v14, v18, v14
	v_pk_fma_f16 v18, 0xb94e, v58, v19 op_sel:[0,0,1] op_sel_hi:[0,1,0] neg_lo:[0,1,0] neg_hi:[0,1,0]
	v_pk_fma_f16 v19, 0xb94e, v58, v19 op_sel:[0,0,1] op_sel_hi:[0,1,0]
	v_pk_mul_f16 v54, 0x3770b3a8, v57
	v_add_f16_e32 v31, v35, v37
	v_pk_add_f16 v35, v52, v36
	v_pk_add_f16 v17, v18, v17
	;; [unrolled: 1-line block ×3, first 2 shown]
	v_pk_fma_f16 v18, 0x3a95, v59, v23 op_sel:[0,0,1] op_sel_hi:[0,1,0] neg_lo:[0,1,0] neg_hi:[0,1,0]
	v_pk_mul_f16 v19, 0xb5ac, v25 op_sel_hi:[0,1]
	v_pk_fma_f16 v23, 0x3a95, v59, v23 op_sel:[0,0,1] op_sel_hi:[0,1,0]
	v_alignbit_b32 v25, v28, v30, 16
	v_pack_b32_f16 v28, v62, v51
	v_pk_add_f16 v17, v18, v17
	v_pk_fma_f16 v18, 0xbb7b, v56, v19 op_sel:[0,0,1] op_sel_hi:[0,1,0] neg_lo:[0,1,0] neg_hi:[0,1,0]
	v_pk_add_f16 v14, v23, v14
	v_pk_fma_f16 v19, 0xbb7b, v56, v19 op_sel:[0,0,1] op_sel_hi:[0,1,0]
	v_pk_mul_f16 v23, 0x2fb7, v26 op_sel_hi:[0,1]
	v_pack_b32_f16 v26, v41, v30
	v_pk_add_f16 v17, v18, v17
	v_bfi_b32 v18, 0xffff, v63, v36
	v_pk_add_f16 v14, v19, v14
	v_pk_fma_f16 v19, 0x3bf1, v57, v23 op_sel:[0,0,1] op_sel_hi:[0,1,0] neg_lo:[0,1,0] neg_hi:[0,1,0]
	v_bfi_b32 v30, 0xffff, v39, v54
	v_pk_fma_f16 v23, 0x3bf1, v57, v23 op_sel:[0,0,1] op_sel_hi:[0,1,0]
	v_pk_add_f16 v18, v60, v18 neg_lo:[0,1] neg_hi:[0,1]
	v_add_f16_e32 v29, v53, v29
	v_pk_add_f16 v17, v19, v17
	v_pk_add_f16 v19, v28, v30
	v_add_f16_e32 v47, v61, v47
	v_bfi_b32 v18, 0xffff, v18, v35
	v_pk_add_f16 v14, v23, v14
	v_pack_b32_f16 v29, v29, v48
	v_pack_b32_f16 v28, v32, v43
	;; [unrolled: 1-line block ×3, first 2 shown]
	v_pk_add_f16 v18, v18, v19
	v_alignbit_b32 v19, v17, v14, 16
	v_alignbit_b32 v14, v14, v17, 16
	ds_store_2addr_b32 v12, v20, v29 offset1:5
	v_pack_b32_f16 v17, v44, v40
	v_pack_b32_f16 v20, v34, v31
	v_alignbit_b32 v29, v38, v18, 16
	v_pack_b32_f16 v18, v33, v18
	v_pack_b32_f16 v30, v21, v22
	ds_store_2addr_b32 v12, v26, v25 offset0:1 offset1:2
	ds_store_2addr_b32 v12, v28, v23 offset0:3 offset1:4
	;; [unrolled: 1-line block ×5, first 2 shown]
	ds_store_b32 v12, v30 offset:48
	v_lshl_add_u32 v28, v10, 2, v0
	v_lshl_add_u32 v29, v8, 2, v0
	global_wb scope:SCOPE_SE
	s_wait_dscnt 0x0
	s_barrier_signal -1
	s_barrier_wait -1
	global_inv scope:SCOPE_SE
	ds_load_b32 v23, v27
	ds_load_2addr_b32 v[11:12], v11 offset0:93 offset1:161
	ds_load_2addr_b32 v[13:14], v13 offset0:101 offset1:186
	;; [unrolled: 1-line block ×4, first 2 shown]
	ds_load_b32 v25, v28
	ds_load_b32 v26, v29
	ds_load_b32 v30, v9 offset:3196
                                        ; implicit-def: $vgpr31
                                        ; implicit-def: $vgpr19
                                        ; implicit-def: $vgpr32
                                        ; implicit-def: $vgpr34
                                        ; implicit-def: $vgpr33
	s_and_saveexec_b32 s1, s0
	s_cbranch_execz .LBB0_14
; %bb.13:
	v_lshlrev_b32_e32 v19, 2, v7
	v_add_nc_u32_e32 v20, 0x680, v9
	s_delay_alu instid0(VALU_DEP_2)
	v_add3_u32 v21, 0, v19, v24
	ds_load_2addr_b32 v[19:20], v20 offset0:9 offset1:230
	ds_load_b32 v21, v21
	ds_load_b32 v33, v9 offset:3468
	s_wait_dscnt 0x2
	v_lshrrev_b32_e32 v31, 16, v19
	v_lshrrev_b32_e32 v32, 16, v20
	s_wait_dscnt 0x1
	v_lshrrev_b32_e32 v22, 16, v21
	s_wait_dscnt 0x0
	v_lshrrev_b32_e32 v34, 16, v33
.LBB0_14:
	s_wait_alu 0xfffe
	s_or_b32 exec_lo, exec_lo, s1
	v_and_b32_e32 v35, 0xff, v3
	v_and_b32_e32 v36, 0xff, v8
	;; [unrolled: 1-line block ×4, first 2 shown]
	s_wait_dscnt 0x6
	v_lshrrev_b32_e32 v58, 16, v11
	v_mul_lo_u16 v35, 0x4f, v35
	v_mul_lo_u16 v36, 0x4f, v36
	s_wait_dscnt 0x5
	v_lshrrev_b32_e32 v59, 16, v14
	s_wait_dscnt 0x4
	v_lshrrev_b32_e32 v60, 16, v17
	v_lshrrev_b32_e32 v61, 16, v12
	v_lshrrev_b16 v48, 10, v35
	v_mul_lo_u16 v35, 0x4f, v37
	v_lshrrev_b16 v49, 10, v36
	v_mul_u32_u24_e32 v36, 0x4ec5, v38
	s_wait_dscnt 0x3
	v_lshrrev_b32_e32 v62, 16, v15
	v_mul_lo_u16 v37, v48, 13
	v_lshrrev_b16 v50, 10, v35
	v_mul_lo_u16 v35, v49, 13
	v_lshrrev_b32_e32 v36, 18, v36
	v_and_b32_e32 v48, 0xffff, v48
	v_sub_nc_u16 v37, v3, v37
	v_mul_lo_u16 v38, v50, 13
	v_sub_nc_u16 v35, v8, v35
	v_mul_lo_u16 v36, v36, 13
	v_and_b32_e32 v49, 0xffff, v49
	v_and_b32_e32 v51, 0xff, v37
	v_sub_nc_u16 v37, v10, v38
	v_and_b32_e32 v52, 0xff, v35
	v_sub_nc_u16 v35, v7, v36
	v_and_b32_e32 v50, 0xffff, v50
	v_mul_u32_u24_e32 v36, 3, v51
	v_and_b32_e32 v53, 0xff, v37
	v_mul_u32_u24_e32 v37, 3, v52
	v_and_b32_e32 v35, 0xffff, v35
	v_mad_u32_u24 v48, 0xd0, v48, 0
	v_lshlrev_b32_e32 v36, 2, v36
	v_mul_u32_u24_e32 v39, 3, v53
	v_lshlrev_b32_e32 v40, 2, v37
	v_mul_u32_u24_e32 v42, 3, v35
	v_mad_u32_u24 v49, 0xd0, v49, 0
	global_load_b96 v[36:38], v36, s[8:9]
	v_lshlrev_b32_e32 v43, 2, v39
	global_load_b96 v[39:41], v40, s[8:9]
	v_lshlrev_b32_e32 v45, 2, v42
	v_mad_u32_u24 v50, 0xd0, v50, 0
	s_clause 0x1
	global_load_b96 v[42:44], v43, s[8:9]
	global_load_b96 v[45:47], v45, s[8:9]
	v_lshlrev_b32_e32 v51, 2, v51
	v_lshlrev_b32_e32 v52, 2, v52
	;; [unrolled: 1-line block ×3, first 2 shown]
	v_lshrrev_b32_e32 v63, 16, v18
	s_wait_dscnt 0x0
	v_lshrrev_b32_e32 v57, 16, v30
	v_add3_u32 v66, v48, v51, v24
	v_add3_u32 v52, v49, v52, v24
	v_add3_u32 v53, v50, v53, v24
	v_lshrrev_b32_e32 v64, 16, v13
	v_lshrrev_b32_e32 v65, 16, v16
	;; [unrolled: 1-line block ×5, first 2 shown]
	global_wb scope:SCOPE_SE
	s_wait_loadcnt 0x0
	s_barrier_signal -1
	s_barrier_wait -1
	global_inv scope:SCOPE_SE
	v_lshrrev_b32_e32 v48, 16, v36
	v_lshrrev_b32_e32 v49, 16, v37
	;; [unrolled: 1-line block ×12, first 2 shown]
	v_mul_f16_e32 v75, v48, v58
	v_mul_f16_e32 v48, v48, v11
	;; [unrolled: 1-line block ×24, first 2 shown]
	v_fma_f16 v11, v36, v11, -v75
	v_fmac_f16_e32 v48, v36, v58
	v_fma_f16 v14, v37, v14, -v76
	v_fmac_f16_e32 v49, v37, v59
	;; [unrolled: 2-line block ×12, first 2 shown]
	v_sub_f16_e32 v14, v23, v14
	v_sub_f16_e32 v31, v54, v49
	;; [unrolled: 1-line block ×16, first 2 shown]
	v_fma_f16 v43, v23, 2.0, -v14
	v_fma_f16 v44, v54, 2.0, -v31
	v_fma_f16 v45, v11, 2.0, -v17
	v_fma_f16 v46, v48, 2.0, -v32
	v_sub_f16_e32 v13, v14, v32
	v_fma_f16 v32, v26, 2.0, -v15
	v_fma_f16 v47, v55, 2.0, -v33
	v_fma_f16 v12, v12, 2.0, -v18
	v_fma_f16 v26, v51, 2.0, -v34
	v_sub_f16_e32 v11, v15, v34
	;; [unrolled: 5-line block ×3, first 2 shown]
	v_fma_f16 v39, v21, 2.0, -v40
	v_fma_f16 v63, v22, 2.0, -v41
	;; [unrolled: 1-line block ×4, first 2 shown]
	v_add_f16_e32 v48, v31, v17
	v_add_f16_e32 v55, v33, v18
	v_sub_f16_e32 v18, v43, v45
	v_sub_f16_e32 v49, v44, v46
	;; [unrolled: 1-line block ×4, first 2 shown]
	v_add_f16_e32 v54, v38, v16
	v_sub_f16_e32 v16, v34, v25
	v_sub_f16_e32 v57, v58, v36
	;; [unrolled: 1-line block ×3, first 2 shown]
	v_add_f16_e32 v51, v41, v20
	v_sub_f16_e32 v26, v39, v30
	v_sub_f16_e32 v62, v63, v61
	v_fma_f16 v17, v14, 2.0, -v13
	v_fma_f16 v50, v31, 2.0, -v48
	;; [unrolled: 1-line block ×14, first 2 shown]
	v_pack_b32_f16 v33, v13, v48
	v_fma_f16 v20, v39, 2.0, -v26
	v_fma_f16 v63, v63, 2.0, -v62
	v_pack_b32_f16 v34, v18, v49
	v_pack_b32_f16 v32, v17, v50
	;; [unrolled: 1-line block ×11, first 2 shown]
	ds_store_2addr_b32 v66, v34, v33 offset0:26 offset1:39
	ds_store_2addr_b32 v66, v41, v32 offset1:13
	ds_store_2addr_b32 v52, v42, v38 offset1:13
	ds_store_2addr_b32 v52, v39, v36 offset0:26 offset1:39
	ds_store_2addr_b32 v53, v44, v40 offset1:13
	ds_store_2addr_b32 v53, v43, v37 offset0:26 offset1:39
	s_and_saveexec_b32 s1, s0
	s_cbranch_execz .LBB0_16
; %bb.15:
	v_and_b32_e32 v32, 0xff, v7
	v_lshlrev_b32_e32 v33, 2, v35
	v_perm_b32 v34, v63, v20, 0x5040100
	v_perm_b32 v35, v61, v25, 0x5040100
	;; [unrolled: 1-line block ×3, first 2 shown]
	v_mul_lo_u16 v32, 0x4f, v32
	s_delay_alu instid0(VALU_DEP_1) | instskip(NEXT) | instid1(VALU_DEP_1)
	v_lshrrev_b16 v32, 10, v32
	v_and_b32_e32 v32, 0xffff, v32
	s_delay_alu instid0(VALU_DEP_1) | instskip(NEXT) | instid1(VALU_DEP_1)
	v_mad_u32_u24 v32, 0xd0, v32, 0
	v_add3_u32 v24, v32, v33, v24
	v_perm_b32 v32, v51, v23, 0x5040100
	ds_store_2addr_b32 v24, v34, v35 offset1:13
	ds_store_2addr_b32 v24, v36, v32 offset0:26 offset1:39
.LBB0_16:
	s_wait_alu 0xfffe
	s_or_b32 exec_lo, exec_lo, s1
	v_cmp_gt_u32_e64 s0, 52, v3
	global_wb scope:SCOPE_SE
	s_wait_dscnt 0x0
	s_barrier_signal -1
	s_barrier_wait -1
	global_inv scope:SCOPE_SE
                                        ; implicit-def: $vgpr52
	s_and_saveexec_b32 s1, s0
	s_cbranch_execz .LBB0_18
; %bb.17:
	v_add_nc_u32_e32 v22, 0x800, v9
	v_add_nc_u32_e32 v21, 0x400, v9
	;; [unrolled: 1-line block ×4, first 2 shown]
	ds_load_b32 v30, v27
	ds_load_2addr_b32 v[17:18], v9 offset0:52 offset1:104
	ds_load_2addr_b32 v[13:14], v9 offset0:156 offset1:208
	;; [unrolled: 1-line block ×8, first 2 shown]
	s_wait_dscnt 0x8
	v_lshrrev_b32_e32 v31, 16, v30
	s_wait_dscnt 0x7
	v_lshrrev_b32_e32 v50, 16, v17
	v_lshrrev_b32_e32 v49, 16, v18
	s_wait_dscnt 0x6
	v_lshrrev_b32_e32 v48, 16, v13
	s_wait_dscnt 0x5
	;; [unrolled: 2-line block ×3, first 2 shown]
	v_lshrrev_b32_e32 v56, 16, v15
	v_lshrrev_b32_e32 v57, 16, v16
	s_wait_dscnt 0x3
	v_lshrrev_b32_e32 v54, 16, v19
	v_lshrrev_b32_e32 v63, 16, v20
	s_wait_dscnt 0x2
	;; [unrolled: 3-line block ×3, first 2 shown]
	v_lshrrev_b32_e32 v51, 16, v23
	v_lshrrev_b32_e32 v52, 16, v24
	;; [unrolled: 1-line block ×3, first 2 shown]
	s_wait_dscnt 0x0
	v_lshrrev_b32_e32 v60, 16, v21
	v_lshrrev_b32_e32 v59, 16, v22
	v_lshrrev_b32_e32 v55, 16, v11
.LBB0_18:
	s_wait_alu 0xfffe
	s_or_b32 exec_lo, exec_lo, s1
	global_wb scope:SCOPE_SE
	s_barrier_signal -1
	s_barrier_wait -1
	global_inv scope:SCOPE_SE
	s_and_saveexec_b32 s1, s0
	s_cbranch_execz .LBB0_20
; %bb.19:
	v_dual_mov_b32 v33, 0 :: v_dual_lshlrev_b32 v32, 4, v3
	s_delay_alu instid0(VALU_DEP_1) | instskip(NEXT) | instid1(VALU_DEP_1)
	v_add_nc_u32_e32 v34, 0xfffffcc0, v32
	v_cndmask_b32_e64 v32, v34, v32, s0
	s_delay_alu instid0(VALU_DEP_1) | instskip(NEXT) | instid1(VALU_DEP_1)
	v_lshlrev_b64_e32 v[32:33], 2, v[32:33]
	v_add_co_u32 v32, s0, s8, v32
	s_wait_alu 0xf1ff
	s_delay_alu instid0(VALU_DEP_2)
	v_add_co_ci_u32_e64 v33, s0, s9, v33, s0
	s_clause 0x3
	global_load_b128 v[65:68], v[32:33], off offset:156
	global_load_b128 v[69:72], v[32:33], off offset:172
	global_load_b128 v[73:76], v[32:33], off offset:188
	global_load_b128 v[77:80], v[32:33], off offset:204
	s_wait_loadcnt 0x3
	v_lshrrev_b32_e32 v33, 16, v65
	v_lshrrev_b32_e32 v34, 16, v66
	;; [unrolled: 1-line block ×3, first 2 shown]
	s_wait_loadcnt 0x0
	v_lshrrev_b32_e32 v39, 16, v80
	v_lshrrev_b32_e32 v37, 16, v69
	;; [unrolled: 1-line block ×7, first 2 shown]
	v_mul_f16_e32 v32, v24, v39
	v_mul_f16_e32 v38, v17, v33
	v_lshrrev_b32_e32 v36, 16, v68
	v_lshrrev_b32_e32 v40, 16, v70
	;; [unrolled: 1-line block ×6, first 2 shown]
	v_mul_f16_e32 v82, v50, v33
	v_mul_f16_e32 v83, v52, v39
	;; [unrolled: 1-line block ×16, first 2 shown]
	v_fmac_f16_e32 v32, v52, v80
	v_fmac_f16_e32 v38, v50, v65
	v_mul_f16_e32 v84, v49, v34
	v_mul_f16_e32 v34, v26, v42
	;; [unrolled: 1-line block ×14, first 2 shown]
	v_fma_f16 v53, v17, v65, -v82
	v_fma_f16 v17, v24, v80, -v83
	v_fmac_f16_e32 v33, v51, v79
	v_fmac_f16_e32 v39, v49, v66
	v_fmac_f16_e32 v45, v56, v73
	v_add_f16_e32 v24, v38, v32
	v_sub_f16_e32 v56, v38, v32
	v_fma_f16 v52, v18, v66, -v84
	v_fma_f16 v18, v23, v79, -v85
	v_fmac_f16_e32 v34, v62, v78
	v_fmac_f16_e32 v41, v48, v67
	v_fma_f16 v49, v21, v69, -v90
	v_fmac_f16_e32 v44, v59, v70
	v_fma_f16 v48, v22, v70, -v92
	v_fmac_f16_e32 v46, v55, v71
	v_sub_f16_e32 v59, v53, v17
	v_add_f16_e32 v22, v39, v33
	v_add_f16_e32 v21, v53, v17
	v_sub_f16_e32 v55, v39, v33
	v_mul_f16_e32 v108, 0x3722, v24
	v_mul_f16_e32 v98, 0xbb29, v56
	v_mul_f16_e64 v148, 0xb461, v24
	v_mul_f16_e64 v131, 0xbbb2, v56
	v_fma_f16 v51, v13, v67, -v86
	v_fma_f16 v13, v26, v78, -v87
	v_fmac_f16_e32 v35, v61, v77
	v_fmac_f16_e32 v42, v64, v68
	v_fma_f16 v50, v14, v68, -v88
	v_fma_f16 v14, v25, v77, -v89
	v_fmac_f16_e32 v37, v54, v75
	v_fma_f16 v26, v11, v71, -v94
	v_fma_f16 v11, v16, v74, -v95
	v_fmac_f16_e32 v47, v58, v72
	v_fma_f16 v25, v12, v72, -v96
	v_sub_f16_e32 v58, v52, v18
	v_add_f16_e32 v12, v41, v34
	v_add_f16_e32 v16, v52, v18
	v_sub_f16_e32 v54, v41, v34
	v_mul_f16_e32 v90, 0x39e9, v24
	v_mul_f16_e32 v105, 0xb8d2, v22
	;; [unrolled: 1-line block ×4, first 2 shown]
	v_mul_f16_e64 v142, 0xbacd, v22
	v_mul_f16_e64 v128, 0x3836, v55
	;; [unrolled: 1-line block ×6, first 2 shown]
	v_fma_f16 v145, 0x3b29, v59, v108
	v_fma_f16 v149, 0x3722, v21, v98
	;; [unrolled: 1-line block ×4, first 2 shown]
	v_fmac_f16_e32 v36, v63, v76
	v_fmac_f16_e32 v43, v60, v69
	;; [unrolled: 1-line block ×3, first 2 shown]
	v_fma_f16 v23, v15, v73, -v81
	v_sub_f16_e32 v57, v51, v13
	v_add_f16_e32 v15, v51, v13
	v_add_f16_e32 v61, v42, v35
	v_sub_f16_e32 v66, v42, v35
	v_mul_f16_e32 v89, 0x2de8, v22
	v_mul_f16_e32 v83, 0xb964, v56
	;; [unrolled: 1-line block ×5, first 2 shown]
	v_mul_f16_e64 v167, 0xb461, v22
	v_mul_f16_e64 v156, 0x3bb2, v55
	;; [unrolled: 1-line block ×4, first 2 shown]
	v_mul_f16_e32 v102, 0x31e1, v54
	v_mul_f16_e64 v135, 0x39e9, v12
	v_mul_f16_e64 v133, 0x3964, v54
	v_fma_f16 v137, 0x3964, v59, v90
	v_fma_f16 v147, 0x3a62, v58, v105
	;; [unrolled: 1-line block ×10, first 2 shown]
	v_add_f16_e64 v145, v31, v145
	v_add_f16_e64 v149, v30, v149
	;; [unrolled: 1-line block ×4, first 2 shown]
	v_fma_f16 v20, v20, v76, -v91
	v_sub_f16_e32 v73, v50, v14
	v_add_f16_e32 v60, v50, v14
	v_add_f16_e32 v63, v43, v36
	v_sub_f16_e32 v69, v43, v36
	v_mul_f16_e32 v82, 0xb8d2, v12
	v_mul_f16_e32 v81, 0xbbf7, v55
	;; [unrolled: 1-line block ×4, first 2 shown]
	v_mul_f16_e64 v162, 0x3b76, v12
	v_mul_f16_e64 v159, 0xb5c8, v54
	;; [unrolled: 1-line block ×4, first 2 shown]
	v_mul_f16_e32 v106, 0xb461, v61
	v_mul_f16_e32 v99, 0x3bb2, v66
	v_mul_f16_e64 v139, 0x3722, v61
	v_mul_f16_e64 v129, 0xbb29, v66
	v_fma_f16 v138, 0x3bf7, v58, v89
	v_fma_f16 v141, 0x39e9, v21, v83
	v_fma_f16 v153, 0x31e1, v58, v123
	v_fma_f16 v161, 0x2de8, v21, v115
	v_fma_f16 v196, 0xbbb2, v58, v167
	v_fma_f16 v198, 0xb461, v16, v156
	v_fma_f16 v200, 0xbb29, v58, v187
	v_fma_f16 v202, 0x3722, v16, v175
	v_fma_f16 v205, 0xb1e1, v57, v97
	v_fma_f16 v206, 0xbbdd, v15, v102
	v_fma_f16 v209, 0xb964, v57, v135
	v_fma_f16 v210, 0x39e9, v15, v133
	v_add_f16_e64 v137, v31, v137
	v_add_f16_e64 v145, v147, v145
	;; [unrolled: 1-line block ×10, first 2 shown]
	v_fma_f16 v19, v19, v75, -v93
	v_sub_f16_e32 v75, v49, v20
	v_add_f16_e32 v62, v49, v20
	v_add_f16_e32 v65, v44, v37
	v_sub_f16_e32 v72, v44, v37
	v_mul_f16_e32 v80, 0xba62, v54
	v_mul_f16_e32 v117, 0x3bb2, v54
	;; [unrolled: 1-line block ×4, first 2 shown]
	v_mul_f16_e64 v165, 0xbacd, v61
	v_mul_f16_e64 v154, 0xb836, v66
	v_mul_f16_e64 v181, 0xb8d2, v61
	v_mul_f16_e64 v173, 0x3a62, v66
	v_mul_f16_e32 v110, 0x39e9, v63
	v_mul_f16_e32 v101, 0x3964, v69
	v_mul_f16_e64 v146, 0xbbdd, v63
	v_mul_f16_e64 v132, 0xb1e1, v69
	v_fma_f16 v143, 0x2de8, v16, v81
	v_fma_f16 v163, 0xbbdd, v16, v112
	;; [unrolled: 1-line block ×11, first 2 shown]
	v_add_f16_e64 v141, v30, v141
	v_add_f16_e64 v137, v138, v137
	v_fma_f16 v138, 0x3722, v60, v129
	v_add_f16_e64 v161, v30, v161
	v_add_f16_e64 v151, v153, v151
	;; [unrolled: 1-line block ×10, first 2 shown]
	v_sub_f16_e32 v78, v48, v19
	v_add_f16_e32 v64, v48, v19
	v_add_f16_e32 v68, v46, v40
	v_sub_f16_e32 v74, v46, v40
	v_mul_f16_e32 v84, 0xb1e1, v66
	v_mul_f16_e32 v113, 0x35c8, v66
	;; [unrolled: 1-line block ×4, first 2 shown]
	v_mul_f16_e64 v169, 0x2de8, v63
	v_mul_f16_e64 v157, 0x3bf7, v69
	v_mul_f16_e64 v186, 0x3b76, v63
	v_mul_f16_e64 v176, 0xb5c8, v69
	v_mul_f16_e32 v107, 0x3b76, v65
	v_mul_f16_e32 v103, 0xb5c8, v72
	v_mul_f16_e64 v140, 0x2de8, v65
	v_mul_f16_e64 v134, 0x3bf7, v72
	v_fma_f16 v204, 0xb8d2, v15, v80
	v_fma_f16 v208, 0xb461, v15, v117
	;; [unrolled: 1-line block ×4, first 2 shown]
	v_add_f16_e64 v141, v143, v141
	v_fma_f16 v143, 0x3836, v73, v165
	v_fma_f16 v147, 0xbacd, v60, v154
	;; [unrolled: 1-line block ×4, first 2 shown]
	v_add_f16_e64 v161, v163, v161
	v_fma_f16 v194, 0xb964, v75, v110
	v_fma_f16 v196, 0x39e9, v62, v101
	;; [unrolled: 1-line block ×3, first 2 shown]
	v_add_f16_e64 v137, v203, v137
	v_fma_f16 v203, 0xbbdd, v62, v132
	v_add_f16_e64 v151, v207, v151
	v_add_f16_e64 v195, v211, v195
	;; [unrolled: 1-line block ×9, first 2 shown]
	v_sub_f16_e32 v76, v26, v11
	v_add_f16_e32 v67, v26, v11
	v_add_f16_e32 v71, v47, v45
	v_sub_f16_e32 v77, v47, v45
	v_mul_f16_e32 v85, 0x3836, v69
	v_mul_f16_e32 v116, 0xbb29, v69
	;; [unrolled: 1-line block ×4, first 2 shown]
	v_mul_f16_e64 v166, 0x39e9, v65
	v_mul_f16_e64 v160, 0xb964, v72
	;; [unrolled: 1-line block ×4, first 2 shown]
	v_mul_f16_e32 v100, 0xbbf7, v74
	v_mul_f16_e64 v144, 0x3b76, v68
	v_mul_f16_e64 v130, 0xb5c8, v74
	;; [unrolled: 1-line block ×3, first 2 shown]
	v_fma_f16 v216, 0xbbdd, v60, v84
	v_fma_f16 v220, 0x3b76, v60, v113
	;; [unrolled: 1-line block ×4, first 2 shown]
	v_add_f16_e64 v141, v204, v141
	v_fma_f16 v204, 0xbbf7, v75, v169
	v_fma_f16 v205, 0x2de8, v62, v157
	;; [unrolled: 1-line block ×4, first 2 shown]
	v_add_f16_e64 v161, v208, v161
	v_fma_f16 v210, 0x35c8, v78, v107
	v_fma_f16 v211, 0x3b76, v64, v103
	;; [unrolled: 1-line block ×3, first 2 shown]
	v_add_f16_e64 v137, v215, v137
	v_fma_f16 v215, 0x2de8, v64, v134
	v_add_f16_e64 v151, v219, v151
	v_add_f16_e64 v143, v143, v195
	;; [unrolled: 1-line block ×9, first 2 shown]
	v_sub_f16_e32 v79, v25, v23
	v_add_f16_e32 v70, v25, v23
	v_mul_f16_e32 v87, 0x3bb2, v72
	v_mul_f16_e32 v118, 0xb836, v72
	;; [unrolled: 1-line block ×3, first 2 shown]
	v_mul_f16_e64 v168, 0xbbdd, v68
	v_mul_f16_e64 v155, 0xb1e1, v74
	;; [unrolled: 1-line block ×4, first 2 shown]
	v_mul_f16_e32 v104, 0xb836, v77
	v_mul_f16_e64 v152, 0xb8d2, v71
	v_mul_f16_e64 v136, 0xba62, v77
	;; [unrolled: 1-line block ×3, first 2 shown]
	v_fma_f16 v192, 0xbacd, v62, v85
	v_fma_f16 v200, 0x3722, v62, v116
	;; [unrolled: 1-line block ×4, first 2 shown]
	v_add_f16_e64 v141, v216, v141
	v_fma_f16 v216, 0x3964, v78, v166
	v_fma_f16 v217, 0x39e9, v64, v160
	;; [unrolled: 1-line block ×4, first 2 shown]
	v_add_f16_e64 v161, v220, v161
	v_fma_f16 v195, 0x2de8, v67, v100
	v_fma_f16 v201, 0x35c8, v76, v144
	v_add_f16_e64 v137, v163, v137
	v_fma_f16 v163, 0x3b76, v67, v130
	v_add_f16_e64 v151, v198, v151
	v_add_f16_e64 v143, v204, v143
	v_add_f16_e64 v147, v205, v147
	v_add_f16_e64 v150, v206, v150
	v_add_f16_e64 v153, v207, v153
	v_add_f16_e64 v145, v210, v145
	v_fma_f16 v210, 0x31e1, v59, v172
	v_add_f16_e64 v149, v211, v149
	v_add_f16_e64 v191, v214, v191
	;; [unrolled: 1-line block ×3, first 2 shown]
	v_fma_f16 v83, v21, 0x39e9, -v83
	v_mul_f16_e32 v94, 0x3722, v68
	v_mul_f16_e32 v88, 0x3b29, v74
	;; [unrolled: 1-line block ×4, first 2 shown]
	v_mul_f16_e64 v164, 0x3b29, v77
	v_mul_f16_e64 v190, 0xbacd, v12
	v_fma_f16 v209, 0xb461, v64, v87
	v_fma_f16 v213, 0xbacd, v64, v118
	;; [unrolled: 1-line block ×3, first 2 shown]
	v_add_f16_e64 v141, v192, v141
	v_fma_f16 v192, 0x31e1, v76, v168
	v_fma_f16 v194, 0xbbdd, v67, v155
	;; [unrolled: 1-line block ×4, first 2 shown]
	v_add_f16_e64 v161, v200, v161
	v_fma_f16 v204, 0xbacd, v70, v104
	v_fma_f16 v207, 0x3a62, v79, v152
	v_add_f16_e64 v137, v208, v137
	v_fma_f16 v208, 0xb8d2, v70, v136
	v_add_f16_e64 v151, v212, v151
	;; [unrolled: 2-line block ×3, first 2 shown]
	v_add_f16_e64 v143, v216, v143
	v_add_f16_e64 v147, v217, v147
	;; [unrolled: 1-line block ×7, first 2 shown]
	v_add_f16_e32 v53, v30, v53
	v_add_f16_e32 v38, v31, v38
	;; [unrolled: 1-line block ×3, first 2 shown]
	v_fma_f16 v81, v16, 0x2de8, -v81
	v_mul_f16_e32 v93, 0x3b76, v71
	v_mul_f16_e32 v86, 0x35c8, v77
	;; [unrolled: 1-line block ×3, first 2 shown]
	v_fma_f16 v220, 0xbb29, v76, v94
	v_fma_f16 v221, 0x3722, v67, v88
	;; [unrolled: 1-line block ×4, first 2 shown]
	v_add_f16_e64 v141, v209, v141
	v_fma_f16 v211, 0x3722, v70, v164
	v_add_f16_e64 v161, v213, v161
	v_add_f16_e64 v145, v193, v145
	;; [unrolled: 1-line block ×10, first 2 shown]
	v_fma_f16 v163, 0x3836, v57, v190
	v_mul_f16_e64 v191, 0x39e9, v61
	v_mul_f16_e64 v196, 0xb1e1, v56
	v_add_f16_e32 v52, v53, v52
	v_add_f16_e32 v38, v38, v39
	v_fmac_f16_e64 v172, 0xb1e1, v59
	v_fmac_f16_e64 v188, 0xb836, v59
	;; [unrolled: 1-line block ×4, first 2 shown]
	v_fmac_f16_e32 v126, 0xbbf7, v59
	v_fmac_f16_e32 v108, 0xbb29, v59
	;; [unrolled: 1-line block ×3, first 2 shown]
	v_add_f16_e32 v81, v81, v83
	v_fma_f16 v80, v15, 0xb8d2, -v80
	v_mul_f16_e32 v59, 0xb5c8, v59
	v_mul_f16_e32 v111, 0xbacd, v71
	;; [unrolled: 1-line block ×3, first 2 shown]
	v_mul_f16_e64 v171, 0x3722, v71
	v_mul_f16_e64 v189, 0xb461, v71
	v_fma_f16 v200, 0xb5c8, v79, v93
	v_fma_f16 v202, 0x3b76, v70, v86
	v_fma_f16 v206, 0x39e9, v70, v119
	v_add_f16_e64 v137, v220, v137
	v_add_f16_e64 v141, v221, v141
	;; [unrolled: 1-line block ×5, first 2 shown]
	v_fma_f16 v197, 0xb964, v73, v191
	v_mul_f16_e64 v198, 0xb8d2, v63
	v_add_f16_e64 v153, v211, v193
	v_fma_f16 v193, 0xbbdd, v21, v196
	v_mul_f16_e64 v199, 0x35c8, v55
	v_add_f16_e32 v51, v52, v51
	v_add_f16_e32 v38, v38, v41
	v_fmac_f16_e64 v183, 0x35c8, v58
	v_fmac_f16_e64 v187, 0x3b29, v58
	;; [unrolled: 1-line block ×4, first 2 shown]
	v_fmac_f16_e32 v123, 0xb1e1, v58
	v_fmac_f16_e32 v105, 0xba62, v58
	;; [unrolled: 1-line block ×3, first 2 shown]
	v_add_f16_e32 v80, v80, v81
	v_fma_f16 v81, v60, 0xbbdd, -v84
	v_fmamk_f16 v84, v24, 0x3b76, v59
	v_mul_f16_e32 v58, 0xb964, v58
	v_mul_f16_e64 v184, 0xbbb2, v77
	v_fma_f16 v203, 0x3836, v79, v111
	v_fma_f16 v205, 0xb964, v79, v127
	;; [unrolled: 1-line block ×3, first 2 shown]
	v_add_f16_e64 v137, v200, v137
	v_add_f16_e64 v138, v202, v141
	;; [unrolled: 1-line block ×3, first 2 shown]
	v_fma_f16 v161, 0x3bb2, v79, v189
	v_add_f16_e64 v163, v197, v163
	v_fma_f16 v197, 0x3a62, v75, v198
	v_mul_f16_e64 v200, 0x3722, v65
	v_add_f16_e64 v193, v30, v193
	v_fma_f16 v201, 0x3b76, v16, v199
	v_mul_f16_e64 v202, 0xb836, v54
	v_add_f16_e32 v50, v51, v50
	v_add_f16_e32 v38, v38, v42
	v_fmac_f16_e64 v190, 0xb836, v57
	v_fmac_f16_e64 v180, 0xbbf7, v57
	;; [unrolled: 1-line block ×4, first 2 shown]
	v_fmac_f16_e32 v120, 0x3bb2, v57
	v_fmac_f16_e32 v97, 0x31e1, v57
	;; [unrolled: 1-line block ×3, first 2 shown]
	v_add_f16_e32 v80, v81, v80
	v_fma_f16 v81, v62, 0xbacd, -v85
	v_add_f16_e32 v84, v31, v84
	v_fmamk_f16 v85, v22, 0x39e9, v58
	v_mul_f16_e32 v57, 0xbb29, v57
	v_add_f16_e64 v141, v203, v145
	v_add_f16_e64 v145, v205, v151
	;; [unrolled: 1-line block ×3, first 2 shown]
	v_fma_f16 v192, 0xb461, v70, v184
	v_add_f16_e64 v161, v161, v194
	v_add_f16_e64 v194, v197, v163
	v_fma_f16 v197, 0xbb29, v78, v200
	v_add_f16_e64 v193, v201, v193
	v_fma_f16 v201, 0xbacd, v15, v202
	v_mul_f16_e64 v203, 0x3964, v66
	v_add_f16_e32 v49, v50, v49
	v_add_f16_e32 v38, v38, v43
	v_fmac_f16_e64 v191, 0x3964, v73
	v_fmac_f16_e64 v181, 0x3a62, v73
	;; [unrolled: 1-line block ×4, first 2 shown]
	v_fmac_f16_e32 v121, 0x35c8, v73
	v_fmac_f16_e32 v106, 0x3bb2, v73
	;; [unrolled: 1-line block ×3, first 2 shown]
	v_add_f16_e32 v80, v81, v80
	v_fma_f16 v81, v64, 0xb461, -v87
	v_add_f16_e32 v84, v85, v84
	v_fmamk_f16 v85, v12, 0x3722, v57
	v_mul_f16_e32 v73, 0xbbf7, v73
	v_add_f16_e64 v163, v192, v195
	v_mul_f16_e64 v192, 0xb461, v68
	v_add_f16_e64 v194, v197, v194
	v_add_f16_e64 v193, v201, v193
	v_fma_f16 v195, 0x39e9, v60, v203
	v_mul_f16_e64 v197, 0xba62, v69
	v_add_f16_e32 v48, v49, v48
	v_add_f16_e32 v38, v38, v44
	v_fmac_f16_e64 v198, 0xba62, v75
	v_fmac_f16_e64 v186, 0xb5c8, v75
	;; [unrolled: 1-line block ×4, first 2 shown]
	v_fmac_f16_e32 v125, 0xbb29, v75
	v_fmac_f16_e32 v110, 0x3964, v75
	;; [unrolled: 1-line block ×3, first 2 shown]
	v_add_f16_e32 v80, v81, v80
	v_fma_f16 v81, v67, 0x3722, -v88
	v_add_f16_e32 v84, v85, v84
	v_fmamk_f16 v85, v61, 0x2de8, v73
	v_mul_f16_e32 v75, 0xbbb2, v75
	v_mul_f16_e32 v56, 0xb5c8, v56
	v_fma_f16 v201, 0x3bb2, v76, v192
	v_mul_f16_e64 v204, 0x2de8, v71
	v_add_f16_e64 v193, v195, v193
	v_fma_f16 v195, 0xb8d2, v62, v197
	v_mul_f16_e64 v205, 0x3b29, v72
	v_add_f16_e32 v26, v48, v26
	v_add_f16_e32 v38, v38, v46
	v_fmac_f16_e64 v200, 0x3b29, v78
	v_fmac_f16_e64 v182, 0xb1e1, v78
	v_fmac_f16_e64 v166, 0xb964, v78
	v_fmac_f16_e64 v140, 0x3bf7, v78
	v_fmac_f16_e32 v122, 0xb836, v78
	v_fmac_f16_e32 v107, 0xb5c8, v78
	;; [unrolled: 1-line block ×3, first 2 shown]
	v_add_f16_e32 v80, v81, v80
	v_fma_f16 v81, v70, 0x3b76, -v86
	v_add_f16_e32 v84, v85, v84
	v_fmamk_f16 v85, v63, 0xb461, v75
	v_mul_f16_e32 v78, 0xba62, v78
	v_fma_f16 v86, v21, 0x3b76, -v56
	v_mul_f16_e32 v55, 0xb964, v55
	v_add_f16_e64 v172, v31, v172
	v_add_f16_e64 v194, v201, v194
	v_fma_f16 v201, 0xbbf7, v79, v204
	v_add_f16_e64 v193, v195, v193
	v_fma_f16 v195, 0x3722, v64, v205
	v_add_f16_e32 v25, v26, v25
	v_add_f16_e32 v26, v38, v47
	;; [unrolled: 1-line block ×4, first 2 shown]
	v_fmamk_f16 v84, v65, 0xb8d2, v78
	v_add_f16_e32 v85, v30, v86
	v_fma_f16 v86, v16, 0x39e9, -v55
	v_mul_f16_e32 v54, 0xbb29, v54
	v_fma_f16 v115, v21, 0x2de8, -v115
	v_fma_f16 v98, v21, 0x3722, -v98
	;; [unrolled: 1-line block ×5, first 2 shown]
	v_add_f16_e64 v183, v183, v172
	v_add_f16_e64 v172, v201, v194
	v_mul_f16_e64 v194, 0xbbb2, v74
	v_add_f16_e64 v193, v195, v193
	v_fma_f16 v195, v21, 0xbbdd, -v196
	v_fma_f16 v178, v21, 0xbacd, -v178
	v_add_f16_e32 v23, v25, v23
	v_add_f16_e32 v25, v26, v45
	;; [unrolled: 1-line block ×5, first 2 shown]
	v_fma_f16 v85, v15, 0x3722, -v54
	v_mul_f16_e32 v39, 0xbbf7, v66
	v_add_f16_e32 v126, v31, v126
	v_add_f16_e32 v115, v30, v115
	v_fma_f16 v112, v16, 0xbbdd, -v112
	v_add_f16_e32 v108, v31, v108
	v_add_f16_e32 v98, v30, v98
	v_fma_f16 v96, v16, 0xb8d2, -v96
	v_add_f16_e64 v170, v31, v170
	v_add_f16_e64 v158, v30, v158
	v_fma_f16 v156, v16, 0xb461, -v156
	v_add_f16_e64 v148, v31, v148
	v_add_f16_e64 v131, v30, v131
	v_fma_f16 v128, v16, 0xbacd, -v128
	v_add_f16_e32 v24, v31, v24
	v_fma_f16 v22, v22, 0x39e9, -v58
	v_fmac_f16_e32 v56, 0x3b76, v21
	v_add_f16_e64 v183, v190, v183
	v_fma_f16 v190, 0xb461, v67, v194
	v_mul_f16_e64 v196, 0x3bf7, v77
	v_add_f16_e64 v195, v30, v195
	v_fma_f16 v199, v16, 0x3b76, -v199
	v_add_f16_e64 v188, v31, v188
	v_add_f16_e64 v178, v30, v178
	v_fma_f16 v175, v16, 0x3722, -v175
	v_add_f16_e32 v11, v23, v11
	v_add_f16_e32 v21, v25, v40
	;; [unrolled: 1-line block ×4, first 2 shown]
	v_fma_f16 v41, v60, 0x2de8, -v39
	v_mul_f16_e32 v52, 0xbbb2, v69
	v_add_f16_e32 v123, v123, v126
	v_add_f16_e32 v112, v112, v115
	v_fma_f16 v115, v15, 0xb461, -v117
	v_add_f16_e32 v105, v105, v108
	v_add_f16_e32 v96, v96, v98
	v_fma_f16 v98, v15, 0xbbdd, -v102
	v_add_f16_e64 v170, v167, v170
	v_add_f16_e64 v156, v156, v158
	v_fma_f16 v158, v15, 0x3b76, -v159
	v_add_f16_e64 v142, v142, v148
	v_add_f16_e64 v128, v128, v131
	v_fma_f16 v131, v15, 0x39e9, -v133
	v_add_f16_e32 v22, v22, v24
	v_fma_f16 v12, v12, 0x3722, -v57
	v_add_f16_e32 v23, v30, v56
	v_fmac_f16_e32 v55, 0x39e9, v16
	v_add_f16_e64 v183, v191, v183
	v_add_f16_e64 v190, v190, v193
	v_fma_f16 v191, 0x2de8, v70, v196
	v_add_f16_e64 v193, v199, v195
	v_fma_f16 v195, v15, 0xbacd, -v202
	v_add_f16_e64 v188, v187, v188
	v_add_f16_e64 v178, v175, v178
	v_fma_f16 v177, v15, 0x2de8, -v177
	v_add_f16_e32 v11, v11, v19
	v_add_f16_e32 v16, v21, v37
	;; [unrolled: 1-line block ×4, first 2 shown]
	v_fma_f16 v42, v62, 0xb461, -v52
	v_mul_f16_e32 v43, 0xba62, v72
	v_add_f16_e32 v120, v120, v123
	v_add_f16_e32 v112, v115, v112
	v_fma_f16 v113, v60, 0x3b76, -v113
	v_add_f16_e32 v97, v97, v105
	v_add_f16_e32 v96, v98, v96
	v_fma_f16 v98, v60, 0xb461, -v99
	v_add_f16_e64 v162, v162, v170
	v_add_f16_e64 v156, v158, v156
	v_fma_f16 v154, v60, 0xbacd, -v154
	v_add_f16_e64 v135, v135, v142
	v_add_f16_e64 v128, v131, v128
	v_fma_f16 v129, v60, 0x3722, -v129
	v_add_f16_e32 v12, v12, v22
	v_fma_f16 v19, v61, 0x2de8, -v73
	v_add_f16_e32 v21, v55, v23
	v_fmac_f16_e32 v54, 0x3722, v15
	v_add_f16_e64 v198, v198, v183
	v_add_f16_e64 v183, v191, v190
	;; [unrolled: 1-line block ×3, first 2 shown]
	v_fma_f16 v191, v60, 0x39e9, -v203
	v_add_f16_e64 v180, v180, v188
	v_add_f16_e64 v177, v177, v178
	v_fma_f16 v173, v60, 0xb8d2, -v173
	v_add_f16_e32 v11, v11, v20
	v_add_f16_e32 v15, v16, v36
	v_add_f16_e32 v82, v91, v82
	v_add_f16_e32 v41, v42, v41
	v_fma_f16 v44, v64, 0xb8d2, -v43
	v_mul_f16_e32 v49, 0xb836, v74
	v_add_f16_e32 v120, v121, v120
	v_add_f16_e32 v112, v113, v112
	v_fma_f16 v113, v62, 0x3722, -v116
	v_add_f16_e32 v97, v106, v97
	v_add_f16_e32 v96, v98, v96
	v_fma_f16 v98, v62, 0x39e9, -v101
	v_add_f16_e64 v162, v165, v162
	v_add_f16_e64 v154, v154, v156
	v_fma_f16 v156, v62, 0x2de8, -v157
	v_add_f16_e64 v135, v139, v135
	v_add_f16_e64 v128, v129, v128
	v_fma_f16 v129, v62, 0xbbdd, -v132
	v_add_f16_e32 v12, v19, v12
	v_fma_f16 v16, v63, 0xb461, -v75
	v_add_f16_e32 v19, v54, v21
	v_fmac_f16_e32 v39, 0x2de8, v60
	v_add_f16_e64 v190, v191, v190
	v_fma_f16 v191, v62, 0xb8d2, -v197
	v_add_f16_e64 v180, v181, v180
	v_add_f16_e64 v173, v173, v177
	v_fma_f16 v176, v62, 0x3b76, -v176
	v_add_f16_e32 v11, v11, v14
	v_add_f16_e32 v14, v15, v35
	;; [unrolled: 1-line block ×3, first 2 shown]
	v_mul_f16_e32 v53, 0xb836, v76
	v_add_f16_e32 v41, v44, v41
	v_fma_f16 v44, v67, 0xbacd, -v49
	v_add_f16_e32 v117, v125, v120
	v_add_f16_e32 v108, v113, v112
	v_fma_f16 v112, v64, 0xbacd, -v118
	v_add_f16_e32 v97, v110, v97
	v_add_f16_e32 v90, v98, v96
	v_fma_f16 v96, v64, 0x3b76, -v103
	v_add_f16_e64 v159, v169, v162
	v_add_f16_e64 v148, v156, v154
	v_fma_f16 v154, v64, 0x39e9, -v160
	v_add_f16_e64 v133, v146, v135
	v_add_f16_e64 v126, v129, v128
	v_fma_f16 v128, v64, 0x2de8, -v134
	v_add_f16_e32 v12, v16, v12
	v_fma_f16 v15, v65, 0xb8d2, -v78
	v_add_f16_e32 v16, v39, v19
	v_fmac_f16_e32 v52, 0xb461, v62
	v_add_f16_e64 v190, v191, v190
	v_fma_f16 v191, v64, 0x3722, -v205
	v_add_f16_e64 v180, v186, v180
	v_add_f16_e64 v173, v176, v173
	v_fma_f16 v176, v64, 0xbbdd, -v179
	v_add_f16_e32 v11, v11, v13
	v_add_f16_e32 v13, v14, v34
	;; [unrolled: 1-line block ×3, first 2 shown]
	v_fmac_f16_e32 v94, 0x3b29, v76
	v_fmamk_f16 v69, v68, 0xbacd, v53
	v_mul_f16_e32 v42, 0xb1e1, v79
	v_add_f16_e32 v38, v44, v41
	v_mul_f16_e32 v41, 0xb1e1, v77
	v_add_f16_e32 v115, v122, v117
	v_fmac_f16_e32 v124, 0x3a62, v76
	v_add_f16_e32 v105, v112, v108
	v_fma_f16 v108, v67, 0xb8d2, -v114
	v_add_f16_e32 v97, v107, v97
	v_fmac_f16_e32 v109, 0xbbf7, v76
	v_add_f16_e32 v89, v96, v90
	v_fma_f16 v90, v67, 0x2de8, -v100
	v_add_f16_e64 v158, v166, v159
	v_fmac_f16_e64 v168, 0xb1e1, v76
	v_add_f16_e64 v142, v154, v148
	v_fma_f16 v148, v67, 0xbbdd, -v155
	v_add_f16_e64 v131, v140, v133
	v_fmac_f16_e64 v144, 0xb5c8, v76
	v_add_f16_e64 v123, v128, v126
	v_fma_f16 v126, v67, 0x3b76, -v130
	v_add_f16_e32 v12, v15, v12
	v_fma_f16 v14, v68, 0xbacd, -v53
	v_add_f16_e32 v15, v52, v16
	v_fmac_f16_e32 v43, 0xb8d2, v64
	v_add_f16_e64 v193, v200, v198
	v_fmac_f16_e64 v192, 0xbbb2, v76
	v_add_f16_e64 v188, v191, v190
	v_fma_f16 v190, v67, 0xb461, -v194
	v_add_f16_e64 v178, v182, v180
	v_fmac_f16_e64 v185, 0x3964, v76
	v_add_f16_e64 v170, v176, v173
	v_fma_f16 v173, v67, 0x39e9, -v174
	v_add_f16_e32 v11, v11, v18
	v_add_f16_e32 v13, v13, v33
	;; [unrolled: 1-line block ×3, first 2 shown]
	v_fmac_f16_e32 v93, 0x35c8, v79
	v_add_f16_e32 v51, v69, v81
	v_fmamk_f16 v50, v71, 0xbbdd, v42
	v_fma_f16 v26, v70, 0xbbdd, -v41
	v_add_f16_e32 v115, v124, v115
	v_fmac_f16_e32 v127, 0x3964, v79
	v_add_f16_e32 v105, v108, v105
	v_fma_f16 v106, v70, 0x39e9, -v119
	v_add_f16_e32 v97, v109, v97
	v_fmac_f16_e32 v111, 0xb836, v79
	v_add_f16_e32 v89, v90, v89
	v_fma_f16 v90, v70, 0xbacd, -v104
	v_add_f16_e64 v157, v168, v158
	v_fmac_f16_e64 v171, 0x3b29, v79
	v_add_f16_e64 v139, v148, v142
	v_fma_f16 v142, v70, 0x3722, -v164
	v_add_f16_e64 v131, v144, v131
	v_fmac_f16_e64 v152, 0xba62, v79
	v_add_f16_e32 v121, v126, v123
	v_fma_f16 v123, v70, 0xb8d2, -v136
	v_add_f16_e32 v12, v14, v12
	v_fma_f16 v14, v71, 0xbbdd, -v42
	v_add_f16_e32 v15, v43, v15
	v_fmac_f16_e32 v49, 0xbacd, v67
	v_add_f16_e64 v192, v192, v193
	v_fmac_f16_e64 v204, 0x3bf7, v79
	v_add_f16_e64 v181, v190, v188
	v_fma_f16 v188, v70, 0x2de8, -v196
	v_add_f16_e64 v177, v185, v178
	v_fmac_f16_e64 v189, 0xbbb2, v79
	v_add_f16_e64 v165, v173, v170
	v_fma_f16 v170, v70, 0xb461, -v184
	v_add_f16_e32 v11, v11, v17
	v_add_f16_e32 v13, v13, v32
	;; [unrolled: 1-line block ×9, first 2 shown]
	v_add_f16_e64 v156, v171, v157
	v_add_f16_e64 v135, v142, v139
	;; [unrolled: 1-line block ×3, first 2 shown]
	v_add_f16_e32 v120, v123, v121
	v_add_f16_e32 v12, v14, v12
	;; [unrolled: 1-line block ×3, first 2 shown]
	v_fmac_f16_e32 v41, 0xbbdd, v70
	v_add_f16_e64 v187, v204, v192
	v_add_f16_e64 v175, v188, v181
	;; [unrolled: 1-line block ×4, first 2 shown]
	v_pack_b32_f16 v11, v11, v13
	v_pack_b32_f16 v13, v16, v46
	;; [unrolled: 1-line block ×7, first 2 shown]
	v_add_nc_u32_e32 v20, 0x400, v9
	v_add_f16_e32 v14, v41, v14
	ds_store_b32 v27, v11
	ds_store_2addr_b32 v9, v13, v15 offset0:52 offset1:104
	ds_store_2addr_b32 v9, v16, v17 offset0:156 offset1:208
	;; [unrolled: 1-line block ×3, first 2 shown]
	v_pack_b32_f16 v11, v162, v167
	v_pack_b32_f16 v13, v175, v187
	;; [unrolled: 1-line block ×4, first 2 shown]
	v_add_nc_u32_e32 v17, 0x600, v9
	v_pack_b32_f16 v18, v153, v151
	v_pack_b32_f16 v19, v150, v149
	v_add_nc_u32_e32 v21, 0x800, v9
	v_pack_b32_f16 v22, v147, v145
	v_pack_b32_f16 v23, v143, v141
	;; [unrolled: 1-line block ×4, first 2 shown]
	v_add_nc_u32_e32 v9, 0xc00, v9
	ds_store_2addr_b32 v20, v11, v13 offset0:108 offset1:160
	ds_store_2addr_b32 v17, v15, v16 offset0:84 offset1:136
	;; [unrolled: 1-line block ×5, first 2 shown]
.LBB0_20:
	s_wait_alu 0xfffe
	s_or_b32 exec_lo, exec_lo, s1
	global_wb scope:SCOPE_SE
	s_wait_dscnt 0x0
	s_barrier_signal -1
	s_barrier_wait -1
	global_inv scope:SCOPE_SE
	ds_load_b32 v9, v27
	v_sub_nc_u32_e32 v14, v0, v4
	s_mov_b32 s1, exec_lo
                                        ; implicit-def: $vgpr17
                                        ; implicit-def: $vgpr15
                                        ; implicit-def: $vgpr16
                                        ; implicit-def: $vgpr12_vgpr13
	s_wait_dscnt 0x0
	v_lshrrev_b32_e32 v11, 16, v9
	v_cmpx_ne_u32_e32 0, v3
	s_wait_alu 0xfffe
	s_xor_b32 s1, exec_lo, s1
	s_cbranch_execz .LBB0_22
; %bb.21:
	v_mov_b32_e32 v4, 0
	s_delay_alu instid0(VALU_DEP_1) | instskip(NEXT) | instid1(VALU_DEP_1)
	v_lshlrev_b64_e32 v[12:13], 2, v[3:4]
	v_add_co_u32 v12, s0, s8, v12
	s_wait_alu 0xf1ff
	s_delay_alu instid0(VALU_DEP_2)
	v_add_co_ci_u32_e64 v13, s0, s9, v13, s0
	global_load_b32 v12, v[12:13], off offset:3484
	ds_load_b32 v13, v14 offset:3536
	s_wait_dscnt 0x0
	v_lshrrev_b32_e32 v15, 16, v13
	v_sub_f16_e32 v16, v9, v13
	v_add_f16_e32 v9, v13, v9
	s_delay_alu instid0(VALU_DEP_3) | instskip(SKIP_1) | instid1(VALU_DEP_4)
	v_add_f16_e32 v17, v15, v11
	v_sub_f16_e32 v11, v11, v15
	v_mul_f16_e32 v18, 0.5, v16
	s_delay_alu instid0(VALU_DEP_3) | instskip(NEXT) | instid1(VALU_DEP_3)
	v_mul_f16_e32 v13, 0.5, v17
	v_mul_f16_e32 v11, 0.5, v11
	s_wait_loadcnt 0x0
	v_lshrrev_b32_e32 v15, 16, v12
	s_delay_alu instid0(VALU_DEP_1) | instskip(NEXT) | instid1(VALU_DEP_3)
	v_mul_f16_e32 v16, v15, v18
	v_fma_f16 v17, v13, v15, v11
	v_fma_f16 v11, v13, v15, -v11
	s_delay_alu instid0(VALU_DEP_3) | instskip(SKIP_1) | instid1(VALU_DEP_4)
	v_fma_f16 v19, 0.5, v9, v16
	v_fma_f16 v9, v9, 0.5, -v16
	v_fma_f16 v16, -v12, v18, v17
	s_delay_alu instid0(VALU_DEP_4) | instskip(NEXT) | instid1(VALU_DEP_4)
	v_fma_f16 v17, -v12, v18, v11
                                        ; implicit-def: $vgpr11
	v_fmac_f16_e32 v19, v12, v13
	s_delay_alu instid0(VALU_DEP_4)
	v_fma_f16 v15, -v12, v13, v9
	v_dual_mov_b32 v13, v4 :: v_dual_mov_b32 v12, v3
                                        ; implicit-def: $vgpr9
	ds_store_b16 v27, v19
.LBB0_22:
	s_wait_alu 0xfffe
	s_and_not1_saveexec_b32 s0, s1
	s_cbranch_execz .LBB0_24
; %bb.23:
	ds_load_u16 v4, v0 offset:1770
	v_dual_mov_b32 v12, 0 :: v_dual_mov_b32 v17, 0
	v_add_f16_e32 v18, v11, v9
	v_sub_f16_e32 v15, v9, v11
	v_dual_mov_b32 v13, 0 :: v_dual_mov_b32 v16, 0
	s_wait_dscnt 0x0
	v_xor_b32_e32 v4, 0x8000, v4
	ds_store_b16 v27, v18
	ds_store_b16 v0, v4 offset:1770
.LBB0_24:
	s_wait_alu 0xfffe
	s_or_b32 exec_lo, exec_lo, s0
	v_mov_b32_e32 v9, 0
	v_perm_b32 v15, v17, v15, 0x5040100
	s_delay_alu instid0(VALU_DEP_2) | instskip(SKIP_1) | instid1(VALU_DEP_1)
	v_lshlrev_b64_e32 v[18:19], 2, v[8:9]
	v_dual_mov_b32 v11, v9 :: v_dual_mov_b32 v8, v9
	v_lshlrev_b64_e32 v[10:11], 2, v[10:11]
	s_delay_alu instid0(VALU_DEP_3) | instskip(SKIP_1) | instid1(VALU_DEP_4)
	v_add_co_u32 v18, s0, s8, v18
	s_wait_alu 0xf1ff
	v_add_co_ci_u32_e64 v19, s0, s9, v19, s0
	v_lshlrev_b64_e32 v[8:9], 2, v[7:8]
	s_delay_alu instid0(VALU_DEP_4)
	v_add_co_u32 v10, s0, s8, v10
	global_load_b32 v4, v[18:19], off offset:3484
	s_wait_alu 0xf1ff
	v_add_co_ci_u32_e64 v11, s0, s9, v11, s0
	v_add_co_u32 v8, s0, s8, v8
	s_wait_alu 0xf1ff
	v_add_co_ci_u32_e64 v9, s0, s9, v9, s0
	global_load_b32 v10, v[10:11], off offset:3484
	s_add_nc_u64 s[0:1], s[8:9], 0xd9c
	v_lshl_add_u32 v7, v7, 2, v0
	global_load_b32 v11, v[8:9], off offset:3484
	v_lshlrev_b64_e32 v[8:9], 2, v[12:13]
	s_wait_alu 0xfffe
	s_delay_alu instid0(VALU_DEP_1) | instskip(SKIP_1) | instid1(VALU_DEP_2)
	v_add_co_u32 v8, s0, s0, v8
	s_wait_alu 0xf1ff
	v_add_co_ci_u32_e64 v9, s0, s1, v9, s0
	s_clause 0x1
	global_load_b32 v12, v[8:9], off offset:1088
	global_load_b32 v13, v[8:9], off offset:1360
	ds_store_b16 v27, v16 offset:2
	ds_store_b32 v14, v15 offset:3536
	ds_load_b32 v16, v14 offset:3264
	ds_load_b32 v15, v29
	s_mov_b32 s1, exec_lo
	s_wait_dscnt 0x0
	v_pk_add_f16 v17, v15, v16 neg_lo:[0,1] neg_hi:[0,1]
	v_pk_add_f16 v15, v15, v16
	s_delay_alu instid0(VALU_DEP_1) | instskip(SKIP_1) | instid1(VALU_DEP_2)
	v_bfi_b32 v16, 0xffff, v17, v15
	v_bfi_b32 v15, 0xffff, v15, v17
	v_pk_mul_f16 v16, v16, 0.5 op_sel_hi:[1,0]
	s_delay_alu instid0(VALU_DEP_2) | instskip(SKIP_1) | instid1(VALU_DEP_1)
	v_pk_mul_f16 v15, v15, 0.5 op_sel_hi:[1,0]
	s_wait_loadcnt 0x4
	v_pk_fma_f16 v17, v4, v16, v15 op_sel:[1,0,0]
	v_pk_mul_f16 v18, v4, v16 op_sel_hi:[0,1]
	v_pk_fma_f16 v19, v4, v16, v15 op_sel:[1,0,0] neg_lo:[1,0,0] neg_hi:[1,0,0]
	v_pk_fma_f16 v4, v4, v16, v15 op_sel:[1,0,0] neg_lo:[0,0,1] neg_hi:[0,0,1]
	s_delay_alu instid0(VALU_DEP_3) | instskip(SKIP_1) | instid1(VALU_DEP_4)
	v_pk_add_f16 v15, v17, v18 op_sel:[0,1] op_sel_hi:[1,0]
	v_pk_add_f16 v16, v17, v18 op_sel:[0,1] op_sel_hi:[1,0] neg_lo:[0,1] neg_hi:[0,1]
	v_pk_add_f16 v17, v19, v18 op_sel:[0,1] op_sel_hi:[1,0] neg_lo:[0,1] neg_hi:[0,1]
	s_delay_alu instid0(VALU_DEP_4) | instskip(NEXT) | instid1(VALU_DEP_3)
	v_pk_add_f16 v4, v4, v18 op_sel:[0,1] op_sel_hi:[1,0] neg_lo:[0,1] neg_hi:[0,1]
	v_bfi_b32 v15, 0xffff, v15, v16
	s_delay_alu instid0(VALU_DEP_2)
	v_bfi_b32 v4, 0xffff, v17, v4
	ds_store_b32 v29, v15
	ds_store_b32 v14, v4 offset:3264
	ds_load_b32 v4, v28
	ds_load_b32 v15, v14 offset:2992
	s_wait_dscnt 0x0
	v_pk_add_f16 v16, v4, v15 neg_lo:[0,1] neg_hi:[0,1]
	v_pk_add_f16 v4, v4, v15
	s_delay_alu instid0(VALU_DEP_1) | instskip(SKIP_1) | instid1(VALU_DEP_2)
	v_bfi_b32 v15, 0xffff, v16, v4
	v_bfi_b32 v4, 0xffff, v4, v16
	v_pk_mul_f16 v15, v15, 0.5 op_sel_hi:[1,0]
	s_delay_alu instid0(VALU_DEP_2) | instskip(SKIP_1) | instid1(VALU_DEP_2)
	v_pk_mul_f16 v4, v4, 0.5 op_sel_hi:[1,0]
	s_wait_loadcnt 0x3
	v_pk_mul_f16 v17, v10, v15 op_sel_hi:[0,1]
	s_delay_alu instid0(VALU_DEP_2) | instskip(SKIP_2) | instid1(VALU_DEP_3)
	v_pk_fma_f16 v16, v10, v15, v4 op_sel:[1,0,0]
	v_pk_fma_f16 v18, v10, v15, v4 op_sel:[1,0,0] neg_lo:[1,0,0] neg_hi:[1,0,0]
	v_pk_fma_f16 v4, v10, v15, v4 op_sel:[1,0,0] neg_lo:[0,0,1] neg_hi:[0,0,1]
	v_pk_add_f16 v10, v16, v17 op_sel:[0,1] op_sel_hi:[1,0]
	v_pk_add_f16 v15, v16, v17 op_sel:[0,1] op_sel_hi:[1,0] neg_lo:[0,1] neg_hi:[0,1]
	s_delay_alu instid0(VALU_DEP_4) | instskip(NEXT) | instid1(VALU_DEP_4)
	v_pk_add_f16 v16, v18, v17 op_sel:[0,1] op_sel_hi:[1,0] neg_lo:[0,1] neg_hi:[0,1]
	v_pk_add_f16 v4, v4, v17 op_sel:[0,1] op_sel_hi:[1,0] neg_lo:[0,1] neg_hi:[0,1]
	s_delay_alu instid0(VALU_DEP_3) | instskip(NEXT) | instid1(VALU_DEP_2)
	v_bfi_b32 v10, 0xffff, v10, v15
	v_bfi_b32 v4, 0xffff, v16, v4
	ds_store_b32 v28, v10
	ds_store_b32 v14, v4 offset:2992
	ds_load_b32 v4, v7
	ds_load_b32 v10, v14 offset:2720
	s_wait_dscnt 0x0
	v_pk_add_f16 v15, v4, v10 neg_lo:[0,1] neg_hi:[0,1]
	v_pk_add_f16 v4, v4, v10
	s_delay_alu instid0(VALU_DEP_1) | instskip(SKIP_1) | instid1(VALU_DEP_2)
	v_bfi_b32 v10, 0xffff, v15, v4
	v_bfi_b32 v4, 0xffff, v4, v15
	v_pk_mul_f16 v10, v10, 0.5 op_sel_hi:[1,0]
	s_delay_alu instid0(VALU_DEP_2) | instskip(SKIP_1) | instid1(VALU_DEP_2)
	v_pk_mul_f16 v4, v4, 0.5 op_sel_hi:[1,0]
	s_wait_loadcnt 0x2
	v_pk_mul_f16 v16, v11, v10 op_sel_hi:[0,1]
	s_delay_alu instid0(VALU_DEP_2) | instskip(SKIP_2) | instid1(VALU_DEP_3)
	v_pk_fma_f16 v15, v11, v10, v4 op_sel:[1,0,0]
	v_pk_fma_f16 v17, v11, v10, v4 op_sel:[1,0,0] neg_lo:[1,0,0] neg_hi:[1,0,0]
	v_pk_fma_f16 v4, v11, v10, v4 op_sel:[1,0,0] neg_lo:[0,0,1] neg_hi:[0,0,1]
	v_pk_add_f16 v10, v15, v16 op_sel:[0,1] op_sel_hi:[1,0]
	v_pk_add_f16 v11, v15, v16 op_sel:[0,1] op_sel_hi:[1,0] neg_lo:[0,1] neg_hi:[0,1]
	s_delay_alu instid0(VALU_DEP_4) | instskip(NEXT) | instid1(VALU_DEP_4)
	v_pk_add_f16 v15, v17, v16 op_sel:[0,1] op_sel_hi:[1,0] neg_lo:[0,1] neg_hi:[0,1]
	v_pk_add_f16 v4, v4, v16 op_sel:[0,1] op_sel_hi:[1,0] neg_lo:[0,1] neg_hi:[0,1]
	s_delay_alu instid0(VALU_DEP_3) | instskip(NEXT) | instid1(VALU_DEP_2)
	v_bfi_b32 v10, 0xffff, v10, v11
	v_bfi_b32 v4, 0xffff, v15, v4
	ds_store_b32 v7, v10
	ds_store_b32 v14, v4 offset:2720
	ds_load_b32 v4, v27 offset:1088
	ds_load_b32 v7, v14 offset:2448
	s_wait_dscnt 0x0
	v_pk_add_f16 v10, v4, v7 neg_lo:[0,1] neg_hi:[0,1]
	v_pk_add_f16 v4, v4, v7
	s_delay_alu instid0(VALU_DEP_1) | instskip(SKIP_1) | instid1(VALU_DEP_2)
	v_bfi_b32 v7, 0xffff, v10, v4
	v_bfi_b32 v4, 0xffff, v4, v10
	v_pk_mul_f16 v7, v7, 0.5 op_sel_hi:[1,0]
	s_delay_alu instid0(VALU_DEP_2) | instskip(SKIP_1) | instid1(VALU_DEP_2)
	v_pk_mul_f16 v4, v4, 0.5 op_sel_hi:[1,0]
	s_wait_loadcnt 0x1
	v_pk_mul_f16 v11, v12, v7 op_sel_hi:[0,1]
	s_delay_alu instid0(VALU_DEP_2) | instskip(SKIP_2) | instid1(VALU_DEP_3)
	v_pk_fma_f16 v10, v12, v7, v4 op_sel:[1,0,0]
	v_pk_fma_f16 v15, v12, v7, v4 op_sel:[1,0,0] neg_lo:[1,0,0] neg_hi:[1,0,0]
	v_pk_fma_f16 v4, v12, v7, v4 op_sel:[1,0,0] neg_lo:[0,0,1] neg_hi:[0,0,1]
	v_pk_add_f16 v7, v10, v11 op_sel:[0,1] op_sel_hi:[1,0]
	v_pk_add_f16 v10, v10, v11 op_sel:[0,1] op_sel_hi:[1,0] neg_lo:[0,1] neg_hi:[0,1]
	s_delay_alu instid0(VALU_DEP_4) | instskip(NEXT) | instid1(VALU_DEP_4)
	v_pk_add_f16 v12, v15, v11 op_sel:[0,1] op_sel_hi:[1,0] neg_lo:[0,1] neg_hi:[0,1]
	v_pk_add_f16 v4, v4, v11 op_sel:[0,1] op_sel_hi:[1,0] neg_lo:[0,1] neg_hi:[0,1]
	s_delay_alu instid0(VALU_DEP_3) | instskip(NEXT) | instid1(VALU_DEP_2)
	v_bfi_b32 v7, 0xffff, v7, v10
	v_bfi_b32 v4, 0xffff, v12, v4
	ds_store_b32 v27, v7 offset:1088
	ds_store_b32 v14, v4 offset:2448
	ds_load_b32 v4, v27 offset:1360
	ds_load_b32 v7, v14 offset:2176
	s_wait_dscnt 0x0
	v_pk_add_f16 v10, v4, v7 neg_lo:[0,1] neg_hi:[0,1]
	v_pk_add_f16 v4, v4, v7
	s_delay_alu instid0(VALU_DEP_1) | instskip(SKIP_1) | instid1(VALU_DEP_2)
	v_bfi_b32 v7, 0xffff, v10, v4
	v_bfi_b32 v4, 0xffff, v4, v10
	v_pk_mul_f16 v7, v7, 0.5 op_sel_hi:[1,0]
	s_delay_alu instid0(VALU_DEP_2) | instskip(SKIP_1) | instid1(VALU_DEP_2)
	v_pk_mul_f16 v4, v4, 0.5 op_sel_hi:[1,0]
	s_wait_loadcnt 0x0
	v_pk_mul_f16 v11, v13, v7 op_sel_hi:[0,1]
	s_delay_alu instid0(VALU_DEP_2) | instskip(SKIP_2) | instid1(VALU_DEP_3)
	v_pk_fma_f16 v10, v13, v7, v4 op_sel:[1,0,0]
	v_pk_fma_f16 v12, v13, v7, v4 op_sel:[1,0,0] neg_lo:[1,0,0] neg_hi:[1,0,0]
	v_pk_fma_f16 v4, v13, v7, v4 op_sel:[1,0,0] neg_lo:[0,0,1] neg_hi:[0,0,1]
	v_pk_add_f16 v7, v10, v11 op_sel:[0,1] op_sel_hi:[1,0]
	v_pk_add_f16 v10, v10, v11 op_sel:[0,1] op_sel_hi:[1,0] neg_lo:[0,1] neg_hi:[0,1]
	s_delay_alu instid0(VALU_DEP_4) | instskip(NEXT) | instid1(VALU_DEP_4)
	v_pk_add_f16 v12, v12, v11 op_sel:[0,1] op_sel_hi:[1,0] neg_lo:[0,1] neg_hi:[0,1]
	v_pk_add_f16 v4, v4, v11 op_sel:[0,1] op_sel_hi:[1,0] neg_lo:[0,1] neg_hi:[0,1]
	s_delay_alu instid0(VALU_DEP_3) | instskip(NEXT) | instid1(VALU_DEP_2)
	v_bfi_b32 v7, 0xffff, v7, v10
	v_bfi_b32 v4, 0xffff, v12, v4
	ds_store_b32 v27, v7 offset:1360
	ds_store_b32 v14, v4 offset:2176
	v_cmpx_gt_u32_e32 34, v3
	s_cbranch_execz .LBB0_26
; %bb.25:
	global_load_b32 v4, v[8:9], off offset:1632
	ds_load_b32 v7, v27 offset:1632
	ds_load_b32 v8, v14 offset:1904
	s_wait_dscnt 0x0
	v_pk_add_f16 v9, v7, v8 neg_lo:[0,1] neg_hi:[0,1]
	v_pk_add_f16 v7, v7, v8
	s_delay_alu instid0(VALU_DEP_1) | instskip(SKIP_1) | instid1(VALU_DEP_2)
	v_bfi_b32 v8, 0xffff, v9, v7
	v_bfi_b32 v7, 0xffff, v7, v9
	v_pk_mul_f16 v8, v8, 0.5 op_sel_hi:[1,0]
	s_delay_alu instid0(VALU_DEP_2) | instskip(SKIP_1) | instid1(VALU_DEP_1)
	v_pk_mul_f16 v7, v7, 0.5 op_sel_hi:[1,0]
	s_wait_loadcnt 0x0
	v_pk_fma_f16 v9, v4, v8, v7 op_sel:[1,0,0]
	v_pk_mul_f16 v10, v4, v8 op_sel_hi:[0,1]
	v_pk_fma_f16 v11, v4, v8, v7 op_sel:[1,0,0] neg_lo:[1,0,0] neg_hi:[1,0,0]
	v_pk_fma_f16 v4, v4, v8, v7 op_sel:[1,0,0] neg_lo:[0,0,1] neg_hi:[0,0,1]
	s_delay_alu instid0(VALU_DEP_3) | instskip(SKIP_1) | instid1(VALU_DEP_4)
	v_pk_add_f16 v7, v9, v10 op_sel:[0,1] op_sel_hi:[1,0]
	v_pk_add_f16 v8, v9, v10 op_sel:[0,1] op_sel_hi:[1,0] neg_lo:[0,1] neg_hi:[0,1]
	v_pk_add_f16 v9, v11, v10 op_sel:[0,1] op_sel_hi:[1,0] neg_lo:[0,1] neg_hi:[0,1]
	s_delay_alu instid0(VALU_DEP_4) | instskip(NEXT) | instid1(VALU_DEP_3)
	v_pk_add_f16 v4, v4, v10 op_sel:[0,1] op_sel_hi:[1,0] neg_lo:[0,1] neg_hi:[0,1]
	v_bfi_b32 v7, 0xffff, v7, v8
	s_delay_alu instid0(VALU_DEP_2)
	v_bfi_b32 v4, 0xffff, v9, v4
	ds_store_b32 v27, v7 offset:1632
	ds_store_b32 v14, v4 offset:1904
.LBB0_26:
	s_wait_alu 0xfffe
	s_or_b32 exec_lo, exec_lo, s1
	global_wb scope:SCOPE_SE
	s_wait_dscnt 0x0
	s_barrier_signal -1
	s_barrier_wait -1
	global_inv scope:SCOPE_SE
	s_and_saveexec_b32 s0, vcc_lo
	s_cbranch_execz .LBB0_29
; %bb.27:
	v_mul_lo_u32 v8, s3, v5
	v_mul_lo_u32 v9, s2, v6
	v_mad_co_u64_u32 v[6:7], null, s2, v5, 0
	v_mov_b32_e32 v4, 0
	v_lshl_add_u32 v5, v3, 2, v0
	v_lshlrev_b64_e32 v[0:1], 2, v[1:2]
	v_add_nc_u32_e32 v10, 0x88, v3
	s_delay_alu instid0(VALU_DEP_4) | instskip(SKIP_4) | instid1(VALU_DEP_4)
	v_dual_mov_b32 v19, v4 :: v_dual_add_nc_u32 v18, 0x110, v3
	v_add3_u32 v7, v7, v9, v8
	v_dual_mov_b32 v9, v4 :: v_dual_add_nc_u32 v8, 0x44, v3
	v_lshlrev_b64_e32 v[14:15], 2, v[3:4]
	v_mov_b32_e32 v11, v4
	v_lshlrev_b64_e32 v[6:7], 2, v[6:7]
	ds_load_2addr_b32 v[12:13], v5 offset1:68
	v_dual_mov_b32 v25, v4 :: v_dual_add_nc_u32 v20, 0x154, v3
	v_lshlrev_b64_e32 v[18:19], 2, v[18:19]
	v_dual_mov_b32 v27, v4 :: v_dual_add_nc_u32 v24, 0x198, v3
	v_add_co_u32 v2, vcc_lo, s6, v6
	s_wait_alu 0xfffd
	v_add_co_ci_u32_e32 v16, vcc_lo, s7, v7, vcc_lo
	v_lshlrev_b64_e32 v[6:7], 2, v[8:9]
	s_delay_alu instid0(VALU_DEP_3) | instskip(SKIP_1) | instid1(VALU_DEP_3)
	v_add_co_u32 v0, vcc_lo, v2, v0
	s_wait_alu 0xfffd
	v_add_co_ci_u32_e32 v1, vcc_lo, v16, v1, vcc_lo
	v_dual_mov_b32 v17, v4 :: v_dual_add_nc_u32 v16, 0xcc, v3
	v_lshlrev_b64_e32 v[8:9], 2, v[10:11]
	v_add_co_u32 v10, vcc_lo, v0, v14
	s_wait_alu 0xfffd
	v_add_co_ci_u32_e32 v11, vcc_lo, v1, v15, vcc_lo
	v_dual_mov_b32 v21, v4 :: v_dual_add_nc_u32 v2, 0x400, v5
	v_add_co_u32 v6, vcc_lo, v0, v6
	v_lshlrev_b64_e32 v[16:17], 2, v[16:17]
	s_wait_alu 0xfffd
	v_add_co_ci_u32_e32 v7, vcc_lo, v1, v7, vcc_lo
	ds_load_2addr_b32 v[14:15], v5 offset0:136 offset1:204
	v_add_co_u32 v8, vcc_lo, v0, v8
	ds_load_2addr_b32 v[22:23], v2 offset0:16 offset1:84
	s_wait_alu 0xfffd
	v_add_co_ci_u32_e32 v9, vcc_lo, v1, v9, vcc_lo
	v_add_co_u32 v16, vcc_lo, v0, v16
	v_lshlrev_b64_e32 v[20:21], 2, v[20:21]
	ds_load_2addr_b32 v[28:29], v2 offset0:152 offset1:220
	v_dual_mov_b32 v31, v4 :: v_dual_add_nc_u32 v26, 0x1dc, v3
	s_wait_alu 0xfffd
	v_add_co_ci_u32_e32 v17, vcc_lo, v1, v17, vcc_lo
	v_add_co_u32 v18, vcc_lo, v0, v18
	v_lshlrev_b64_e32 v[24:25], 2, v[24:25]
	s_wait_alu 0xfffd
	v_add_co_ci_u32_e32 v19, vcc_lo, v1, v19, vcc_lo
	v_add_co_u32 v20, vcc_lo, v0, v20
	v_lshlrev_b64_e32 v[26:27], 2, v[26:27]
	s_wait_alu 0xfffd
	v_add_co_ci_u32_e32 v21, vcc_lo, v1, v21, vcc_lo
	v_add_co_u32 v24, vcc_lo, v0, v24
	s_wait_alu 0xfffd
	v_add_co_ci_u32_e32 v25, vcc_lo, v1, v25, vcc_lo
	v_add_nc_u32_e32 v30, 0x220, v3
	v_add_co_u32 v26, vcc_lo, v0, v26
	s_wait_alu 0xfffd
	v_add_co_ci_u32_e32 v27, vcc_lo, v1, v27, vcc_lo
	s_wait_dscnt 0x3
	s_clause 0x1
	global_store_b32 v[10:11], v12, off
	global_store_b32 v[6:7], v13, off
	s_wait_dscnt 0x2
	s_clause 0x1
	global_store_b32 v[8:9], v14, off
	global_store_b32 v[16:17], v15, off
	;; [unrolled: 4-line block ×4, first 2 shown]
	v_dual_mov_b32 v9, v4 :: v_dual_add_nc_u32 v8, 0x264, v3
	v_mov_b32_e32 v15, v4
	v_lshlrev_b64_e32 v[30:31], 2, v[30:31]
	v_dual_mov_b32 v13, v4 :: v_dual_add_nc_u32 v2, 0x800, v5
	v_dual_mov_b32 v19, v4 :: v_dual_add_nc_u32 v12, 0x2a8, v3
	v_lshlrev_b64_e32 v[8:9], 2, v[8:9]
	v_add_nc_u32_e32 v14, 0x2ec, v3
	ds_load_2addr_b32 v[6:7], v2 offset0:32 offset1:100
	v_add_co_u32 v10, vcc_lo, v0, v30
	v_lshlrev_b64_e32 v[12:13], 2, v[12:13]
	v_add_nc_u32_e32 v18, 0x330, v3
	s_wait_alu 0xfffd
	v_add_co_ci_u32_e32 v11, vcc_lo, v1, v31, vcc_lo
	ds_load_2addr_b32 v[16:17], v2 offset0:168 offset1:236
	v_add_co_u32 v8, vcc_lo, v0, v8
	v_lshlrev_b64_e32 v[14:15], 2, v[14:15]
	ds_load_b32 v2, v5 offset:3264
	s_wait_alu 0xfffd
	v_add_co_ci_u32_e32 v9, vcc_lo, v1, v9, vcc_lo
	v_add_co_u32 v12, vcc_lo, v0, v12
	v_lshlrev_b64_e32 v[18:19], 2, v[18:19]
	s_wait_alu 0xfffd
	v_add_co_ci_u32_e32 v13, vcc_lo, v1, v13, vcc_lo
	v_add_co_u32 v14, vcc_lo, v0, v14
	s_wait_alu 0xfffd
	v_add_co_ci_u32_e32 v15, vcc_lo, v1, v15, vcc_lo
	v_add_co_u32 v18, vcc_lo, v0, v18
	s_wait_alu 0xfffd
	v_add_co_ci_u32_e32 v19, vcc_lo, v1, v19, vcc_lo
	v_cmp_eq_u32_e32 vcc_lo, 0x43, v3
	s_wait_dscnt 0x2
	s_clause 0x1
	global_store_b32 v[10:11], v6, off
	global_store_b32 v[8:9], v7, off
	s_wait_dscnt 0x1
	s_clause 0x1
	global_store_b32 v[12:13], v16, off
	global_store_b32 v[14:15], v17, off
	s_wait_dscnt 0x0
	global_store_b32 v[18:19], v2, off
	s_and_b32 exec_lo, exec_lo, vcc_lo
	s_cbranch_execz .LBB0_29
; %bb.28:
	ds_load_b32 v2, v5 offset:3268
	s_wait_dscnt 0x0
	global_store_b32 v[0:1], v2, off offset:3536
.LBB0_29:
	s_nop 0
	s_sendmsg sendmsg(MSG_DEALLOC_VGPRS)
	s_endpgm
	.section	.rodata,"a",@progbits
	.p2align	6, 0x0
	.amdhsa_kernel fft_rtc_fwd_len884_factors_13_4_17_wgs_204_tpt_68_halfLds_half_op_CI_CI_unitstride_sbrr_R2C_dirReg
		.amdhsa_group_segment_fixed_size 0
		.amdhsa_private_segment_fixed_size 0
		.amdhsa_kernarg_size 104
		.amdhsa_user_sgpr_count 2
		.amdhsa_user_sgpr_dispatch_ptr 0
		.amdhsa_user_sgpr_queue_ptr 0
		.amdhsa_user_sgpr_kernarg_segment_ptr 1
		.amdhsa_user_sgpr_dispatch_id 0
		.amdhsa_user_sgpr_private_segment_size 0
		.amdhsa_wavefront_size32 1
		.amdhsa_uses_dynamic_stack 0
		.amdhsa_enable_private_segment 0
		.amdhsa_system_sgpr_workgroup_id_x 1
		.amdhsa_system_sgpr_workgroup_id_y 0
		.amdhsa_system_sgpr_workgroup_id_z 0
		.amdhsa_system_sgpr_workgroup_info 0
		.amdhsa_system_vgpr_workitem_id 0
		.amdhsa_next_free_vgpr 222
		.amdhsa_next_free_sgpr 39
		.amdhsa_reserve_vcc 1
		.amdhsa_float_round_mode_32 0
		.amdhsa_float_round_mode_16_64 0
		.amdhsa_float_denorm_mode_32 3
		.amdhsa_float_denorm_mode_16_64 3
		.amdhsa_fp16_overflow 0
		.amdhsa_workgroup_processor_mode 1
		.amdhsa_memory_ordered 1
		.amdhsa_forward_progress 0
		.amdhsa_round_robin_scheduling 0
		.amdhsa_exception_fp_ieee_invalid_op 0
		.amdhsa_exception_fp_denorm_src 0
		.amdhsa_exception_fp_ieee_div_zero 0
		.amdhsa_exception_fp_ieee_overflow 0
		.amdhsa_exception_fp_ieee_underflow 0
		.amdhsa_exception_fp_ieee_inexact 0
		.amdhsa_exception_int_div_zero 0
	.end_amdhsa_kernel
	.text
.Lfunc_end0:
	.size	fft_rtc_fwd_len884_factors_13_4_17_wgs_204_tpt_68_halfLds_half_op_CI_CI_unitstride_sbrr_R2C_dirReg, .Lfunc_end0-fft_rtc_fwd_len884_factors_13_4_17_wgs_204_tpt_68_halfLds_half_op_CI_CI_unitstride_sbrr_R2C_dirReg
                                        ; -- End function
	.section	.AMDGPU.csdata,"",@progbits
; Kernel info:
; codeLenInByte = 16600
; NumSgprs: 41
; NumVgprs: 222
; ScratchSize: 0
; MemoryBound: 0
; FloatMode: 240
; IeeeMode: 1
; LDSByteSize: 0 bytes/workgroup (compile time only)
; SGPRBlocks: 5
; VGPRBlocks: 27
; NumSGPRsForWavesPerEU: 41
; NumVGPRsForWavesPerEU: 222
; Occupancy: 6
; WaveLimiterHint : 1
; COMPUTE_PGM_RSRC2:SCRATCH_EN: 0
; COMPUTE_PGM_RSRC2:USER_SGPR: 2
; COMPUTE_PGM_RSRC2:TRAP_HANDLER: 0
; COMPUTE_PGM_RSRC2:TGID_X_EN: 1
; COMPUTE_PGM_RSRC2:TGID_Y_EN: 0
; COMPUTE_PGM_RSRC2:TGID_Z_EN: 0
; COMPUTE_PGM_RSRC2:TIDIG_COMP_CNT: 0
	.text
	.p2alignl 7, 3214868480
	.fill 96, 4, 3214868480
	.type	__hip_cuid_5264cf0ee84558b7,@object ; @__hip_cuid_5264cf0ee84558b7
	.section	.bss,"aw",@nobits
	.globl	__hip_cuid_5264cf0ee84558b7
__hip_cuid_5264cf0ee84558b7:
	.byte	0                               ; 0x0
	.size	__hip_cuid_5264cf0ee84558b7, 1

	.ident	"AMD clang version 19.0.0git (https://github.com/RadeonOpenCompute/llvm-project roc-6.4.0 25133 c7fe45cf4b819c5991fe208aaa96edf142730f1d)"
	.section	".note.GNU-stack","",@progbits
	.addrsig
	.addrsig_sym __hip_cuid_5264cf0ee84558b7
	.amdgpu_metadata
---
amdhsa.kernels:
  - .args:
      - .actual_access:  read_only
        .address_space:  global
        .offset:         0
        .size:           8
        .value_kind:     global_buffer
      - .offset:         8
        .size:           8
        .value_kind:     by_value
      - .actual_access:  read_only
        .address_space:  global
        .offset:         16
        .size:           8
        .value_kind:     global_buffer
      - .actual_access:  read_only
        .address_space:  global
        .offset:         24
        .size:           8
        .value_kind:     global_buffer
      - .actual_access:  read_only
        .address_space:  global
        .offset:         32
        .size:           8
        .value_kind:     global_buffer
      - .offset:         40
        .size:           8
        .value_kind:     by_value
      - .actual_access:  read_only
        .address_space:  global
        .offset:         48
        .size:           8
        .value_kind:     global_buffer
      - .actual_access:  read_only
        .address_space:  global
        .offset:         56
        .size:           8
        .value_kind:     global_buffer
      - .offset:         64
        .size:           4
        .value_kind:     by_value
      - .actual_access:  read_only
        .address_space:  global
        .offset:         72
        .size:           8
        .value_kind:     global_buffer
      - .actual_access:  read_only
        .address_space:  global
        .offset:         80
        .size:           8
        .value_kind:     global_buffer
      - .actual_access:  read_only
        .address_space:  global
        .offset:         88
        .size:           8
        .value_kind:     global_buffer
      - .actual_access:  write_only
        .address_space:  global
        .offset:         96
        .size:           8
        .value_kind:     global_buffer
    .group_segment_fixed_size: 0
    .kernarg_segment_align: 8
    .kernarg_segment_size: 104
    .language:       OpenCL C
    .language_version:
      - 2
      - 0
    .max_flat_workgroup_size: 204
    .name:           fft_rtc_fwd_len884_factors_13_4_17_wgs_204_tpt_68_halfLds_half_op_CI_CI_unitstride_sbrr_R2C_dirReg
    .private_segment_fixed_size: 0
    .sgpr_count:     41
    .sgpr_spill_count: 0
    .symbol:         fft_rtc_fwd_len884_factors_13_4_17_wgs_204_tpt_68_halfLds_half_op_CI_CI_unitstride_sbrr_R2C_dirReg.kd
    .uniform_work_group_size: 1
    .uses_dynamic_stack: false
    .vgpr_count:     222
    .vgpr_spill_count: 0
    .wavefront_size: 32
    .workgroup_processor_mode: 1
amdhsa.target:   amdgcn-amd-amdhsa--gfx1201
amdhsa.version:
  - 1
  - 2
...

	.end_amdgpu_metadata
